;; amdgpu-corpus repo=ROCm/rocFFT kind=compiled arch=gfx906 opt=O3
	.text
	.amdgcn_target "amdgcn-amd-amdhsa--gfx906"
	.amdhsa_code_object_version 6
	.protected	bluestein_single_back_len528_dim1_half_op_CI_CI ; -- Begin function bluestein_single_back_len528_dim1_half_op_CI_CI
	.globl	bluestein_single_back_len528_dim1_half_op_CI_CI
	.p2align	8
	.type	bluestein_single_back_len528_dim1_half_op_CI_CI,@function
bluestein_single_back_len528_dim1_half_op_CI_CI: ; @bluestein_single_back_len528_dim1_half_op_CI_CI
; %bb.0:
	s_load_dwordx4 s[12:15], s[4:5], 0x28
	v_mul_u32_u24_e32 v1, 0x556, v0
	v_add_u32_sdwa v17, s6, v1 dst_sel:DWORD dst_unused:UNUSED_PAD src0_sel:DWORD src1_sel:WORD_1
	v_mov_b32_e32 v18, 0
	s_waitcnt lgkmcnt(0)
	v_cmp_gt_u64_e32 vcc, s[12:13], v[17:18]
	s_and_saveexec_b64 s[0:1], vcc
	s_cbranch_execz .LBB0_31
; %bb.1:
	s_load_dwordx4 s[0:3], s[4:5], 0x18
	s_load_dwordx2 s[12:13], s[4:5], 0x0
	v_mov_b32_e32 v2, 48
	v_mul_lo_u16_sdwa v1, v1, v2 dst_sel:DWORD dst_unused:UNUSED_PAD src0_sel:WORD_1 src1_sel:DWORD
	v_sub_u16_e32 v40, v0, v1
	s_waitcnt lgkmcnt(0)
	s_load_dwordx4 s[8:11], s[0:1], 0x0
	v_lshlrev_b32_e32 v32, 2, v40
	global_load_dword v41, v32, s[12:13]
	global_load_dword v39, v32, s[12:13] offset:528
	v_mov_b32_e32 v10, s13
	s_waitcnt lgkmcnt(0)
	v_mad_u64_u32 v[0:1], s[0:1], s10, v17, 0
	v_mad_u64_u32 v[2:3], s[0:1], s8, v40, 0
	v_mad_u64_u32 v[4:5], s[0:1], s11, v17, v[1:2]
	v_mad_u64_u32 v[5:6], s[0:1], s9, v40, v[3:4]
	v_mov_b32_e32 v1, v4
	v_lshlrev_b64 v[0:1], 2, v[0:1]
	v_mov_b32_e32 v6, s15
	v_mov_b32_e32 v3, v5
	v_add_co_u32_e32 v4, vcc, s14, v0
	v_addc_co_u32_e32 v5, vcc, v6, v1, vcc
	v_lshlrev_b64 v[0:1], 2, v[2:3]
	s_mul_i32 s0, s9, 0x84
	s_mul_hi_u32 s1, s8, 0x84
	v_add_co_u32_e32 v0, vcc, v4, v0
	s_add_i32 s1, s1, s0
	s_mul_i32 s0, s8, 0x84
	v_addc_co_u32_e32 v1, vcc, v5, v1, vcc
	s_lshl_b64 s[14:15], s[0:1], 2
	global_load_dword v4, v[0:1], off
	v_mov_b32_e32 v5, s15
	v_add_co_u32_e32 v0, vcc, s14, v0
	v_addc_co_u32_e32 v1, vcc, v1, v5, vcc
	v_add_co_u32_e32 v2, vcc, s14, v0
	v_addc_co_u32_e32 v3, vcc, v1, v5, vcc
	global_load_dword v6, v[0:1], off
	global_load_dword v7, v[2:3], off
	global_load_dword v38, v32, s[12:13] offset:1056
	v_add_co_u32_e32 v0, vcc, s14, v2
	v_addc_co_u32_e32 v1, vcc, v3, v5, vcc
	s_mul_hi_u32 s1, s8, 0xfffffea4
	global_load_dword v2, v[0:1], off
	global_load_dword v37, v32, s[12:13] offset:1584
	s_mul_i32 s0, s9, 0xfffffea4
	s_sub_i32 s1, s1, s8
	s_add_i32 s1, s1, s0
	s_mul_i32 s0, s8, 0xfffffea4
	s_lshl_b64 s[16:17], s[0:1], 2
	v_mov_b32_e32 v3, s17
	v_add_co_u32_e32 v0, vcc, s16, v0
	v_addc_co_u32_e32 v1, vcc, v1, v3, vcc
	global_load_dword v3, v[0:1], off
	global_load_dword v33, v32, s[12:13] offset:1776
	global_load_dword v34, v32, s[12:13] offset:1248
	;; [unrolled: 1-line block ×4, first 2 shown]
	v_add_co_u32_e32 v0, vcc, s14, v0
	v_addc_co_u32_e32 v1, vcc, v1, v5, vcc
	global_load_dword v8, v[0:1], off
	v_add_co_u32_e32 v0, vcc, s14, v0
	v_addc_co_u32_e32 v1, vcc, v1, v5, vcc
	global_load_dword v9, v[0:1], off
	;; [unrolled: 3-line block ×3, first 2 shown]
	v_add_co_u32_e32 v15, vcc, s12, v32
	v_addc_co_u32_e32 v16, vcc, 0, v10, vcc
	s_load_dwordx2 s[6:7], s[4:5], 0x38
	s_load_dwordx4 s[8:11], s[2:3], 0x0
	v_cmp_gt_u16_e64 s[0:1], 36, v40
	s_waitcnt vmcnt(13)
	v_lshrrev_b32_e32 v10, 16, v4
	v_mul_f16_sdwa v11, v41, v4 dst_sel:DWORD dst_unused:UNUSED_PAD src0_sel:WORD_1 src1_sel:DWORD
	v_mul_f16_sdwa v12, v41, v10 dst_sel:DWORD dst_unused:UNUSED_PAD src0_sel:WORD_1 src1_sel:DWORD
	v_fma_f16 v10, v41, v10, -v11
	v_fma_f16 v4, v41, v4, v12
	v_pack_b32_f16 v4, v4, v10
	s_waitcnt vmcnt(12)
	v_lshrrev_b32_e32 v11, 16, v6
	v_mul_f16_sdwa v13, v39, v6 dst_sel:DWORD dst_unused:UNUSED_PAD src0_sel:WORD_1 src1_sel:DWORD
	v_mul_f16_sdwa v12, v39, v11 dst_sel:DWORD dst_unused:UNUSED_PAD src0_sel:WORD_1 src1_sel:DWORD
	v_fma_f16 v11, v39, v11, -v13
	v_fma_f16 v6, v39, v6, v12
	s_waitcnt vmcnt(11)
	v_lshrrev_b32_e32 v13, 16, v7
	v_pack_b32_f16 v6, v6, v11
	s_waitcnt vmcnt(10)
	v_mul_f16_sdwa v10, v38, v13 dst_sel:DWORD dst_unused:UNUSED_PAD src0_sel:WORD_1 src1_sel:DWORD
	ds_write_b32 v32, v6 offset:528
	v_mul_f16_sdwa v6, v38, v7 dst_sel:DWORD dst_unused:UNUSED_PAD src0_sel:WORD_1 src1_sel:DWORD
	v_fma_f16 v10, v38, v7, v10
	v_fma_f16 v6, v38, v13, -v6
	v_pack_b32_f16 v6, v10, v6
	ds_write_b32 v32, v6 offset:1056
	s_waitcnt vmcnt(9)
	v_lshrrev_b32_e32 v6, 16, v2
	s_waitcnt vmcnt(8)
	v_mul_f16_sdwa v7, v37, v6 dst_sel:DWORD dst_unused:UNUSED_PAD src0_sel:WORD_1 src1_sel:DWORD
	v_fma_f16 v7, v37, v2, v7
	v_mul_f16_sdwa v2, v37, v2 dst_sel:DWORD dst_unused:UNUSED_PAD src0_sel:WORD_1 src1_sel:DWORD
	v_fma_f16 v2, v37, v6, -v2
	v_pack_b32_f16 v2, v7, v2
	ds_write_b32 v32, v2 offset:1584
	s_waitcnt vmcnt(7)
	v_lshrrev_b32_e32 v2, 16, v3
	s_waitcnt vmcnt(3)
	v_mul_f16_sdwa v6, v36, v2 dst_sel:DWORD dst_unused:UNUSED_PAD src0_sel:WORD_1 src1_sel:DWORD
	v_fma_f16 v6, v36, v3, v6
	v_mul_f16_sdwa v3, v36, v3 dst_sel:DWORD dst_unused:UNUSED_PAD src0_sel:WORD_1 src1_sel:DWORD
	v_fma_f16 v2, v36, v2, -v3
	v_pack_b32_f16 v2, v6, v2
	ds_write2_b32 v32, v4, v2 offset1:48
	s_waitcnt vmcnt(2)
	v_lshrrev_b32_e32 v2, 16, v8
	v_mul_f16_sdwa v3, v35, v2 dst_sel:DWORD dst_unused:UNUSED_PAD src0_sel:WORD_1 src1_sel:DWORD
	v_mul_f16_sdwa v4, v35, v8 dst_sel:DWORD dst_unused:UNUSED_PAD src0_sel:WORD_1 src1_sel:DWORD
	v_fma_f16 v3, v35, v8, v3
	v_fma_f16 v2, v35, v2, -v4
	v_pack_b32_f16 v2, v3, v2
	ds_write_b32 v32, v2 offset:720
	s_waitcnt vmcnt(1)
	v_lshrrev_b32_e32 v2, 16, v9
	v_mul_f16_sdwa v3, v34, v2 dst_sel:DWORD dst_unused:UNUSED_PAD src0_sel:WORD_1 src1_sel:DWORD
	v_mul_f16_sdwa v4, v34, v9 dst_sel:DWORD dst_unused:UNUSED_PAD src0_sel:WORD_1 src1_sel:DWORD
	v_fma_f16 v3, v34, v9, v3
	v_fma_f16 v2, v34, v2, -v4
	v_pack_b32_f16 v2, v3, v2
	ds_write_b32 v32, v2 offset:1248
	;; [unrolled: 8-line block ×3, first 2 shown]
	s_and_saveexec_b64 s[2:3], s[0:1]
	s_cbranch_execz .LBB0_3
; %bb.2:
	v_mov_b32_e32 v2, s17
	v_add_co_u32_e32 v0, vcc, s16, v0
	v_addc_co_u32_e32 v1, vcc, v1, v2, vcc
	global_load_dword v2, v[0:1], off
	global_load_dword v3, v[15:16], off offset:384
	v_mov_b32_e32 v4, s15
	v_add_co_u32_e32 v0, vcc, s14, v0
	v_addc_co_u32_e32 v1, vcc, v1, v4, vcc
	global_load_dword v5, v[0:1], off
	global_load_dword v6, v[15:16], off offset:912
	v_add_co_u32_e32 v0, vcc, s14, v0
	v_addc_co_u32_e32 v1, vcc, v1, v4, vcc
	global_load_dword v7, v[0:1], off
	global_load_dword v8, v[15:16], off offset:1440
	;; [unrolled: 4-line block ×3, first 2 shown]
	s_waitcnt vmcnt(7)
	v_lshrrev_b32_e32 v0, 16, v2
	s_waitcnt vmcnt(6)
	v_mul_f16_sdwa v1, v3, v2 dst_sel:DWORD dst_unused:UNUSED_PAD src0_sel:WORD_1 src1_sel:DWORD
	v_mul_f16_sdwa v10, v3, v0 dst_sel:DWORD dst_unused:UNUSED_PAD src0_sel:WORD_1 src1_sel:DWORD
	v_fma_f16 v0, v3, v0, -v1
	v_fma_f16 v2, v3, v2, v10
	v_pack_b32_f16 v0, v2, v0
	s_waitcnt vmcnt(5)
	v_lshrrev_b32_e32 v1, 16, v5
	s_waitcnt vmcnt(4)
	v_mul_f16_sdwa v11, v6, v5 dst_sel:DWORD dst_unused:UNUSED_PAD src0_sel:WORD_1 src1_sel:DWORD
	v_mul_f16_sdwa v3, v6, v1 dst_sel:DWORD dst_unused:UNUSED_PAD src0_sel:WORD_1 src1_sel:DWORD
	v_fma_f16 v1, v6, v1, -v11
	v_fma_f16 v2, v6, v5, v3
	s_waitcnt vmcnt(3)
	v_lshrrev_b32_e32 v10, 16, v7
	s_waitcnt vmcnt(2)
	v_mul_f16_sdwa v11, v8, v7 dst_sel:DWORD dst_unused:UNUSED_PAD src0_sel:WORD_1 src1_sel:DWORD
	v_mul_f16_sdwa v3, v8, v10 dst_sel:DWORD dst_unused:UNUSED_PAD src0_sel:WORD_1 src1_sel:DWORD
	v_fma_f16 v5, v8, v10, -v11
	v_pack_b32_f16 v1, v2, v1
	s_waitcnt vmcnt(1)
	v_lshrrev_b32_e32 v6, 16, v4
	s_waitcnt vmcnt(0)
	v_mul_f16_sdwa v10, v9, v4 dst_sel:DWORD dst_unused:UNUSED_PAD src0_sel:WORD_1 src1_sel:DWORD
	v_fma_f16 v2, v8, v7, v3
	v_mul_f16_sdwa v3, v9, v6 dst_sel:DWORD dst_unused:UNUSED_PAD src0_sel:WORD_1 src1_sel:DWORD
	v_fma_f16 v6, v9, v6, -v10
	ds_write2_b32 v32, v0, v1 offset0:96 offset1:228
	v_fma_f16 v1, v9, v4, v3
	v_pack_b32_f16 v0, v2, v5
	v_pack_b32_f16 v1, v1, v6
	v_add_u32_e32 v2, 0x400, v32
	ds_write2_b32 v2, v0, v1 offset0:104 offset1:236
.LBB0_3:
	s_or_b64 exec, exec, s[2:3]
	v_add_u32_e32 v3, 0x400, v32
	s_waitcnt lgkmcnt(0)
	; wave barrier
	s_waitcnt lgkmcnt(0)
	ds_read2_b32 v[6:7], v32 offset1:48
	ds_read2_b32 v[8:9], v32 offset0:132 offset1:180
	ds_read2_b32 v[4:5], v3 offset0:8 offset1:56
	;; [unrolled: 1-line block ×3, first 2 shown]
                                        ; implicit-def: $vgpr0
                                        ; implicit-def: $vgpr2
	s_and_saveexec_b64 s[2:3], s[0:1]
	s_cbranch_execz .LBB0_5
; %bb.4:
	ds_read2_b32 v[0:1], v32 offset0:96 offset1:228
	ds_read2_b32 v[2:3], v3 offset0:104 offset1:236
.LBB0_5:
	s_or_b64 exec, exec, s[2:3]
	s_waitcnt lgkmcnt(1)
	v_pk_add_f16 v12, v6, v4 neg_lo:[0,1] neg_hi:[0,1]
	v_pk_add_f16 v5, v7, v5 neg_lo:[0,1] neg_hi:[0,1]
	s_waitcnt lgkmcnt(0)
	v_pk_add_f16 v24, v0, v2 neg_lo:[0,1] neg_hi:[0,1]
	v_pk_add_f16 v3, v1, v3 neg_lo:[0,1] neg_hi:[0,1]
	;; [unrolled: 1-line block ×3, first 2 shown]
	v_lshrrev_b32_e32 v13, 16, v12
	v_pk_add_f16 v26, v9, v11 neg_lo:[0,1] neg_hi:[0,1]
	v_lshrrev_b32_e32 v11, 16, v5
	v_pk_fma_f16 v0, v0, 2.0, v24 op_sel_hi:[1,0,1] neg_lo:[0,0,1] neg_hi:[0,0,1]
	v_pk_fma_f16 v1, v1, 2.0, v3 op_sel_hi:[1,0,1] neg_lo:[0,0,1] neg_hi:[0,0,1]
	v_sub_f16_sdwa v4, v12, v10 dst_sel:DWORD dst_unused:UNUSED_PAD src0_sel:DWORD src1_sel:WORD_1
	v_add_f16_e32 v14, v13, v10
	v_add_f16_e32 v28, v11, v26
	v_pk_add_f16 v2, v0, v1 neg_lo:[0,1] neg_hi:[0,1]
	v_lshrrev_b32_e32 v1, 16, v24
	s_load_dwordx2 s[4:5], s[4:5], 0x8
	v_fma_f16 v18, v12, 2.0, -v4
	v_fma_f16 v42, v11, 2.0, -v28
	v_pack_b32_f16 v21, v4, v14
	v_sub_f16_sdwa v4, v24, v3 dst_sel:DWORD dst_unused:UNUSED_PAD src0_sel:DWORD src1_sel:WORD_1
	v_add_f16_e32 v11, v3, v1
	v_pk_fma_f16 v3, v6, 2.0, v12 op_sel_hi:[1,0,1] neg_lo:[0,0,1] neg_hi:[0,0,1]
	v_pk_fma_f16 v6, v8, 2.0, v10 op_sel_hi:[1,0,1] neg_lo:[0,0,1] neg_hi:[0,0,1]
	v_fma_f16 v13, v13, 2.0, -v14
	v_pk_add_f16 v20, v3, v6 neg_lo:[0,1] neg_hi:[0,1]
	v_sub_f16_sdwa v27, v5, v26 dst_sel:DWORD dst_unused:UNUSED_PAD src0_sel:DWORD src1_sel:WORD_1
	v_pack_b32_f16 v19, v18, v13
	v_fma_f16 v25, v1, 2.0, -v11
	v_pk_fma_f16 v18, v3, 2.0, v20 op_sel_hi:[1,0,1] neg_lo:[0,0,1] neg_hi:[0,0,1]
	v_pk_fma_f16 v1, v7, 2.0, v5 op_sel_hi:[1,0,1] neg_lo:[0,0,1] neg_hi:[0,0,1]
	;; [unrolled: 1-line block ×3, first 2 shown]
	v_add_co_u32_e32 v23, vcc, 48, v40
	v_add_co_u32_e32 v22, vcc, 0x60, v40
	v_fma_f16 v29, v5, 2.0, -v27
	v_pk_add_f16 v9, v1, v3 neg_lo:[0,1] neg_hi:[0,1]
	v_pk_fma_f16 v0, v0, 2.0, v2 op_sel_hi:[1,0,1] neg_lo:[0,0,1] neg_hi:[0,0,1]
	v_fma_f16 v6, v24, 2.0, -v4
	v_lshlrev_b32_e32 v31, 4, v40
	v_lshlrev_b32_e32 v24, 2, v23
	;; [unrolled: 1-line block ×3, first 2 shown]
	v_pk_fma_f16 v7, v1, 2.0, v9 op_sel_hi:[1,0,1] neg_lo:[0,0,1] neg_hi:[0,0,1]
	v_pack_b32_f16 v10, v27, v28
	v_pack_b32_f16 v8, v29, v42
	v_lshlrev_b32_e32 v29, 4, v22
	s_waitcnt lgkmcnt(0)
	; wave barrier
	s_waitcnt lgkmcnt(0)
	ds_write_b128 v31, v[18:21]
	ds_write_b128 v30, v[7:10]
	s_and_saveexec_b64 s[2:3], s[0:1]
	s_cbranch_execz .LBB0_7
; %bb.6:
	s_mov_b32 s14, 0x5040100
	v_perm_b32 v3, v11, v4, s14
	v_perm_b32 v1, v25, v6, s14
	ds_write_b128 v29, v[0:3]
.LBB0_7:
	s_or_b64 exec, exec, s[2:3]
	v_add_u32_e32 v1, 0x400, v32
	s_waitcnt lgkmcnt(0)
	; wave barrier
	s_waitcnt lgkmcnt(0)
	ds_read2_b32 v[7:8], v32 offset1:48
	ds_read2_b32 v[9:10], v32 offset0:132 offset1:180
	ds_read2_b32 v[18:19], v1 offset0:8 offset1:56
	;; [unrolled: 1-line block ×3, first 2 shown]
	s_and_saveexec_b64 s[2:3], s[0:1]
	s_cbranch_execz .LBB0_9
; %bb.8:
	ds_read2_b32 v[5:6], v32 offset0:96 offset1:228
	ds_read2_b32 v[3:4], v1 offset0:104 offset1:236
	s_waitcnt lgkmcnt(1)
	v_lshrrev_b32_e32 v25, 16, v6
	s_waitcnt lgkmcnt(0)
	v_lshrrev_b32_e32 v11, 16, v4
	v_mov_b32_e32 v2, v3
	v_mov_b32_e32 v0, v5
.LBB0_9:
	s_or_b64 exec, exec, s[2:3]
	v_and_b32_e32 v42, 3, v40
	v_mad_u64_u32 v[12:13], s[2:3], v42, 12, s[4:5]
	s_waitcnt lgkmcnt(2)
	v_lshrrev_b32_e32 v1, 16, v9
	v_lshrrev_b32_e32 v3, 16, v10
	global_load_dwordx3 v[12:14], v[12:13], off
	v_lshrrev_b32_e32 v5, 16, v2
	s_waitcnt lgkmcnt(1)
	v_lshrrev_b32_e32 v27, 16, v18
	v_lshrrev_b32_e32 v28, 16, v19
	s_waitcnt lgkmcnt(0)
	v_lshrrev_b32_e32 v43, 16, v20
	v_lshrrev_b32_e32 v44, 16, v21
	v_lshrrev_b32_e32 v45, 16, v7
	v_lshrrev_b32_e32 v26, 16, v0
	v_lshrrev_b32_e32 v46, 16, v8
	s_movk_i32 s2, 0xf0
	s_waitcnt lgkmcnt(0)
	; wave barrier
	s_waitcnt vmcnt(0)
	v_mul_f16_sdwa v47, v5, v13 dst_sel:DWORD dst_unused:UNUSED_PAD src0_sel:DWORD src1_sel:WORD_1
	v_mul_f16_sdwa v49, v1, v12 dst_sel:DWORD dst_unused:UNUSED_PAD src0_sel:DWORD src1_sel:WORD_1
	;; [unrolled: 1-line block ×18, first 2 shown]
	v_fma_f16 v2, v2, v13, -v47
	v_fma_f16 v9, v9, v12, -v49
	v_fma_f16 v47, v10, v12, -v51
	v_fma_f16 v10, v18, v13, -v53
	v_fma_f16 v18, v19, v13, -v54
	v_fma_f16 v19, v20, v14, -v57
	v_fma_f16 v20, v21, v14, -v58
	v_fma_f16 v6, v6, v12, -v61
	v_fma_f16 v4, v4, v14, -v63
	v_fma_f16 v1, v1, v12, v50
	v_fma_f16 v21, v27, v13, v55
	;; [unrolled: 1-line block ×9, first 2 shown]
	v_sub_f16_e32 v44, v0, v2
	v_sub_f16_e32 v48, v7, v10
	;; [unrolled: 1-line block ×10, first 2 shown]
	v_fma_f16 v2, v0, 2.0, -v44
	v_fma_f16 v7, v7, 2.0, -v48
	;; [unrolled: 1-line block ×7, first 2 shown]
	v_sub_f16_e32 v5, v26, v5
	v_sub_f16_e32 v18, v8, v18
	;; [unrolled: 1-line block ×4, first 2 shown]
	v_add_f16_e32 v19, v11, v19
	v_fma_f16 v21, v46, 2.0, -v27
	v_fma_f16 v45, v47, 2.0, -v20
	;; [unrolled: 1-line block ×3, first 2 shown]
	v_add_f16_e32 v47, v27, v20
	v_sub_f16_e32 v9, v7, v9
	v_sub_f16_e32 v43, v25, v43
	v_add_f16_e32 v20, v5, v4
	v_fma_f16 v8, v8, 2.0, -v18
	v_sub_f16_e32 v1, v2, v0
	v_fma_f16 v0, v44, 2.0, -v10
	v_fma_f16 v44, v48, 2.0, -v49
	;; [unrolled: 1-line block ×3, first 2 shown]
	v_sub_f16_e32 v50, v21, v3
	v_fma_f16 v7, v7, 2.0, -v9
	v_fma_f16 v25, v25, 2.0, -v43
	;; [unrolled: 1-line block ×4, first 2 shown]
	v_and_or_b32 v5, v32, s2, v42
	v_sub_f16_e32 v48, v8, v45
	v_pack_b32_f16 v4, v7, v25
	v_lshlrev_b32_e32 v45, 2, v5
	v_pack_b32_f16 v5, v44, v46
	v_sub_f16_e32 v28, v18, v28
	ds_write2_b32 v45, v4, v5 offset1:4
	v_pack_b32_f16 v4, v9, v43
	v_pack_b32_f16 v5, v49, v19
	s_movk_i32 s2, 0x1f0
	v_fma_f16 v18, v18, 2.0, -v28
	v_fma_f16 v27, v27, 2.0, -v47
	;; [unrolled: 1-line block ×4, first 2 shown]
	ds_write2_b32 v45, v4, v5 offset0:8 offset1:12
	v_and_or_b32 v4, v24, s2, v42
	v_lshlrev_b32_e32 v46, 2, v4
	v_pack_b32_f16 v4, v8, v51
	v_pack_b32_f16 v5, v18, v27
	v_sub_f16_e32 v21, v3, v6
	ds_write2_b32 v46, v4, v5 offset1:4
	v_pack_b32_f16 v4, v48, v50
	v_pack_b32_f16 v5, v28, v47
	v_lshlrev_b32_e32 v44, 2, v22
	ds_write2_b32 v46, v4, v5 offset0:8 offset1:12
	s_and_saveexec_b64 s[2:3], s[0:1]
	s_cbranch_execz .LBB0_11
; %bb.10:
	s_movk_i32 s14, 0x3f0
	v_fma_f16 v2, v2, 2.0, -v1
	v_fma_f16 v3, v3, 2.0, -v21
	v_and_or_b32 v4, v44, s14, v42
	s_mov_b32 s14, 0x5040100
	v_lshlrev_b32_e32 v4, 2, v4
	v_pack_b32_f16 v2, v2, v3
	v_perm_b32 v3, v11, v0, s14
	ds_write2_b32 v4, v2, v3 offset1:4
	v_perm_b32 v2, v21, v1, s14
	v_perm_b32 v3, v20, v10, s14
	ds_write2_b32 v4, v2, v3 offset0:8 offset1:12
.LBB0_11:
	s_or_b64 exec, exec, s[2:3]
	v_add_u32_e32 v6, 0x400, v32
	v_add_u32_e32 v18, 0x200, v32
	s_waitcnt lgkmcnt(0)
	; wave barrier
	s_waitcnt lgkmcnt(0)
	ds_read2_b32 v[4:5], v32 offset1:48
	ds_read2_b32 v[2:3], v32 offset0:96 offset1:176
	ds_read2_b32 v[8:9], v6 offset0:96 offset1:144
	;; [unrolled: 1-line block ×3, first 2 shown]
	ds_read_b32 v24, v32 offset:1792
	v_cmp_gt_u16_e32 vcc, 32, v40
	s_and_saveexec_b64 s[2:3], vcc
	s_cbranch_execz .LBB0_13
; %bb.12:
	ds_read2_b32 v[0:1], v18 offset0:16 offset1:192
	ds_read_b32 v10, v32 offset:1984
	s_waitcnt lgkmcnt(1)
	v_lshrrev_b32_e32 v11, 16, v0
	v_lshrrev_b32_e32 v21, 16, v1
	s_waitcnt lgkmcnt(0)
	v_lshrrev_b32_e32 v20, 16, v10
.LBB0_13:
	s_or_b64 exec, exec, s[2:3]
	v_and_b32_e32 v43, 15, v40
	v_lshlrev_b32_e32 v18, 3, v43
	global_load_dwordx2 v[18:19], v18, s[4:5] offset:48
	s_waitcnt lgkmcnt(3)
	v_lshrrev_b32_e32 v26, 16, v3
	s_waitcnt lgkmcnt(2)
	v_lshrrev_b32_e32 v27, 16, v8
	;; [unrolled: 2-line block ×3, first 2 shown]
	v_lshrrev_b32_e32 v48, 16, v9
	v_lshrrev_b32_e32 v50, 16, v7
	s_waitcnt lgkmcnt(0)
	v_lshrrev_b32_e32 v51, 16, v24
	s_movk_i32 s2, 0x90
	v_lshrrev_b32_e32 v25, 16, v4
	v_lshrrev_b32_e32 v28, 16, v5
	;; [unrolled: 1-line block ×3, first 2 shown]
	s_waitcnt lgkmcnt(0)
	; wave barrier
	s_waitcnt vmcnt(0)
	v_mul_f16_sdwa v52, v26, v18 dst_sel:DWORD dst_unused:UNUSED_PAD src0_sel:DWORD src1_sel:WORD_1
	v_fma_f16 v52, v3, v18, -v52
	v_mul_f16_sdwa v3, v3, v18 dst_sel:DWORD dst_unused:UNUSED_PAD src0_sel:DWORD src1_sel:WORD_1
	v_fma_f16 v26, v26, v18, v3
	v_mul_f16_sdwa v3, v27, v19 dst_sel:DWORD dst_unused:UNUSED_PAD src0_sel:DWORD src1_sel:WORD_1
	v_fma_f16 v53, v8, v19, -v3
	v_mul_f16_sdwa v3, v8, v19 dst_sel:DWORD dst_unused:UNUSED_PAD src0_sel:DWORD src1_sel:WORD_1
	v_fma_f16 v8, v27, v19, v3
	;; [unrolled: 4-line block ×7, first 2 shown]
	v_mul_f16_sdwa v1, v20, v19 dst_sel:DWORD dst_unused:UNUSED_PAD src0_sel:DWORD src1_sel:WORD_1
	v_fma_f16 v1, v10, v19, -v1
	v_mul_f16_sdwa v7, v10, v19 dst_sel:DWORD dst_unused:UNUSED_PAD src0_sel:DWORD src1_sel:WORD_1
	v_add_f16_e32 v10, v4, v52
	v_add_co_u32_e64 v51, s[2:3], s2, v40
	v_fma_f16 v7, v20, v19, v7
	v_add_f16_e32 v20, v10, v53
	v_add_f16_e32 v10, v52, v53
	v_fma_f16 v4, v10, -0.5, v4
	v_sub_f16_e32 v10, v26, v8
	s_movk_i32 s2, 0x3aee
	s_mov_b32 s3, 0xbaee
	v_fma_f16 v21, v10, s2, v4
	v_fma_f16 v56, v10, s3, v4
	v_add_f16_e32 v4, v25, v26
	v_add_f16_e32 v57, v4, v8
	v_add_f16_e32 v4, v26, v8
	v_fma_f16 v4, v4, -0.5, v25
	v_sub_f16_e32 v8, v52, v53
	v_fma_f16 v25, v8, s3, v4
	v_fma_f16 v26, v8, s2, v4
	v_add_f16_e32 v4, v5, v27
	v_add_f16_e32 v52, v4, v54
	v_add_f16_e32 v4, v27, v54
	v_fma_f16 v4, v4, -0.5, v5
	v_sub_f16_e32 v5, v47, v9
	v_fma_f16 v53, v5, s2, v4
	v_fma_f16 v58, v5, s3, v4
	v_add_f16_e32 v4, v28, v47
	v_add_f16_e32 v59, v4, v9
	v_add_f16_e32 v4, v47, v9
	v_fma_f16 v4, v4, -0.5, v28
	v_sub_f16_e32 v5, v27, v54
	v_fma_f16 v9, v5, s3, v4
	v_fma_f16 v27, v5, s2, v4
	v_add_f16_e32 v4, v2, v48
	v_add_f16_e32 v28, v4, v55
	v_add_f16_e32 v4, v48, v55
	v_fma_f16 v2, v4, -0.5, v2
	v_sub_f16_e32 v4, v50, v24
	v_fma_f16 v47, v4, s2, v2
	v_fma_f16 v54, v4, s3, v2
	v_sub_f16_e32 v4, v48, v55
	v_lshrrev_b32_e32 v48, 4, v40
	v_mul_u32_u24_e32 v48, 48, v48
	v_or_b32_e32 v48, v48, v43
	v_lshlrev_b32_e32 v48, 2, v48
	v_pack_b32_f16 v20, v20, v57
	v_pack_b32_f16 v21, v21, v25
	ds_write2_b32 v48, v20, v21 offset1:16
	v_pack_b32_f16 v20, v56, v26
	ds_write_b32 v48, v20 offset:128
	v_lshrrev_b32_e32 v20, 4, v23
	v_add_f16_e32 v2, v49, v50
	v_mul_u32_u24_e32 v20, 48, v20
	v_add_f16_e32 v60, v2, v24
	v_add_f16_e32 v2, v50, v24
	v_or_b32_e32 v20, v20, v43
	v_fma_f16 v2, v2, -0.5, v49
	v_lshlrev_b32_e32 v49, 2, v20
	v_pack_b32_f16 v20, v52, v59
	v_pack_b32_f16 v9, v53, v9
	ds_write2_b32 v49, v20, v9 offset1:16
	v_pack_b32_f16 v9, v58, v27
	ds_write_b32 v49, v9 offset:128
	v_lshrrev_b32_e32 v9, 4, v22
	v_mul_u32_u24_e32 v9, 48, v9
	v_fma_f16 v55, v4, s3, v2
	v_fma_f16 v61, v4, s2, v2
	v_add_f16_e32 v2, v3, v1
	v_add_f16_e32 v5, v6, v7
	v_or_b32_e32 v9, v9, v43
	v_fma_f16 v2, v2, -0.5, v0
	v_sub_f16_e32 v4, v6, v7
	v_fma_f16 v5, v5, -0.5, v11
	v_sub_f16_e32 v8, v3, v1
	v_lshlrev_b32_e32 v50, 2, v9
	v_pack_b32_f16 v9, v28, v60
	v_pack_b32_f16 v20, v47, v55
	v_fma_f16 v10, v4, s3, v2
	v_fma_f16 v24, v8, s2, v5
	ds_write2_b32 v50, v9, v20 offset1:16
	v_pack_b32_f16 v9, v54, v61
	v_lshrrev_b32_e32 v47, 4, v51
	ds_write_b32 v50, v9 offset:128
	s_and_saveexec_b64 s[2:3], vcc
	s_cbranch_execz .LBB0_15
; %bb.14:
	v_mul_f16_e32 v4, 0x3aee, v4
	v_add_f16_e32 v0, v0, v3
	v_mul_f16_e32 v8, 0x3aee, v8
	v_add_f16_e32 v2, v4, v2
	v_add_f16_e32 v4, v11, v6
	v_add_f16_e32 v0, v0, v1
	v_mul_u32_u24_e32 v1, 48, v47
	v_sub_f16_e32 v5, v5, v8
	v_add_f16_e32 v4, v4, v7
	v_or_b32_e32 v1, v1, v43
	v_lshlrev_b32_e32 v1, 2, v1
	v_pack_b32_f16 v0, v0, v4
	v_pack_b32_f16 v2, v2, v5
	s_mov_b32 s14, 0x5040100
	ds_write2_b32 v1, v0, v2 offset1:16
	v_perm_b32 v0, v24, v10, s14
	ds_write_b32 v1, v0 offset:128
.LBB0_15:
	s_or_b64 exec, exec, s[2:3]
	v_mad_u64_u32 v[8:9], s[2:3], v40, 40, s[4:5]
	s_waitcnt lgkmcnt(0)
	; wave barrier
	s_waitcnt lgkmcnt(0)
	global_load_dwordx4 v[0:3], v[8:9], off offset:176
	global_load_dwordx4 v[4:7], v[8:9], off offset:192
	global_load_dwordx2 v[20:21], v[8:9], off offset:208
	ds_read2_b32 v[8:9], v32 offset1:48
	ds_read2_b32 v[22:23], v32 offset0:96 offset1:144
	ds_read2_b32 v[25:26], v32 offset0:192 offset1:240
	ds_read_b32 v11, v32 offset:1920
	v_add_u32_e32 v27, 0x400, v32
	s_waitcnt lgkmcnt(3)
	v_lshrrev_b32_e32 v28, 16, v9
	ds_read2_b32 v[51:52], v27 offset0:32 offset1:80
	ds_read2_b32 v[53:54], v27 offset0:128 offset1:176
	s_waitcnt lgkmcnt(4)
	v_lshrrev_b32_e32 v55, 16, v22
	v_lshrrev_b32_e32 v56, 16, v23
	s_waitcnt lgkmcnt(3)
	v_lshrrev_b32_e32 v57, 16, v25
	v_lshrrev_b32_e32 v58, 16, v26
	s_waitcnt lgkmcnt(2)
	v_lshrrev_b32_e32 v59, 16, v11
	s_waitcnt lgkmcnt(1)
	v_lshrrev_b32_e32 v60, 16, v51
	v_lshrrev_b32_e32 v61, 16, v52
	s_waitcnt lgkmcnt(0)
	v_lshrrev_b32_e32 v62, 16, v53
	v_lshrrev_b32_e32 v63, 16, v54
	s_movk_i32 s2, 0x3abb
	s_movk_i32 s3, 0x36a6
	s_mov_b32 s5, 0xb93d
	s_mov_b32 s4, 0xb08e
	;; [unrolled: 1-line block ×3, first 2 shown]
	s_waitcnt vmcnt(2)
	v_mul_f16_sdwa v64, v28, v0 dst_sel:DWORD dst_unused:UNUSED_PAD src0_sel:DWORD src1_sel:WORD_1
	v_mul_f16_sdwa v65, v9, v0 dst_sel:DWORD dst_unused:UNUSED_PAD src0_sel:DWORD src1_sel:WORD_1
	;; [unrolled: 1-line block ×3, first 2 shown]
	v_fma_f16 v9, v9, v0, -v64
	v_mul_f16_sdwa v67, v22, v1 dst_sel:DWORD dst_unused:UNUSED_PAD src0_sel:DWORD src1_sel:WORD_1
	v_mul_f16_sdwa v68, v56, v2 dst_sel:DWORD dst_unused:UNUSED_PAD src0_sel:DWORD src1_sel:WORD_1
	v_fma_f16 v22, v22, v1, -v66
	v_add_f16_e32 v64, v8, v9
	v_mul_f16_sdwa v69, v23, v2 dst_sel:DWORD dst_unused:UNUSED_PAD src0_sel:DWORD src1_sel:WORD_1
	v_mul_f16_sdwa v70, v57, v3 dst_sel:DWORD dst_unused:UNUSED_PAD src0_sel:DWORD src1_sel:WORD_1
	v_fma_f16 v23, v23, v2, -v68
	v_fma_f16 v28, v28, v0, v65
	s_waitcnt vmcnt(0)
	v_mul_f16_sdwa v65, v11, v21 dst_sel:DWORD dst_unused:UNUSED_PAD src0_sel:DWORD src1_sel:WORD_1
	v_add_f16_e32 v64, v64, v22
	v_mul_f16_sdwa v71, v25, v3 dst_sel:DWORD dst_unused:UNUSED_PAD src0_sel:DWORD src1_sel:WORD_1
	v_mul_f16_sdwa v72, v58, v4 dst_sel:DWORD dst_unused:UNUSED_PAD src0_sel:DWORD src1_sel:WORD_1
	;; [unrolled: 1-line block ×3, first 2 shown]
	v_fma_f16 v55, v55, v1, v67
	v_fma_f16 v25, v25, v3, -v70
	v_fma_f16 v59, v59, v21, v65
	v_add_f16_sdwa v65, v8, v28 dst_sel:DWORD dst_unused:UNUSED_PAD src0_sel:WORD_1 src1_sel:DWORD
	v_add_f16_e32 v64, v64, v23
	v_mul_f16_sdwa v73, v26, v4 dst_sel:DWORD dst_unused:UNUSED_PAD src0_sel:DWORD src1_sel:WORD_1
	v_mul_f16_sdwa v74, v60, v5 dst_sel:DWORD dst_unused:UNUSED_PAD src0_sel:DWORD src1_sel:WORD_1
	v_fma_f16 v56, v56, v2, v69
	v_fma_f16 v26, v26, v4, -v72
	v_add_f16_e32 v65, v65, v55
	v_add_f16_e32 v64, v64, v25
	v_mul_f16_sdwa v75, v51, v5 dst_sel:DWORD dst_unused:UNUSED_PAD src0_sel:DWORD src1_sel:WORD_1
	v_mul_f16_sdwa v76, v61, v6 dst_sel:DWORD dst_unused:UNUSED_PAD src0_sel:DWORD src1_sel:WORD_1
	v_fma_f16 v57, v57, v3, v71
	v_fma_f16 v51, v51, v5, -v74
	v_add_f16_e32 v65, v65, v56
	;; [unrolled: 6-line block ×3, first 2 shown]
	v_add_f16_e32 v64, v64, v51
	v_mul_f16_sdwa v79, v53, v7 dst_sel:DWORD dst_unused:UNUSED_PAD src0_sel:DWORD src1_sel:WORD_1
	v_mul_f16_sdwa v80, v63, v20 dst_sel:DWORD dst_unused:UNUSED_PAD src0_sel:DWORD src1_sel:WORD_1
	;; [unrolled: 1-line block ×3, first 2 shown]
	v_fma_f16 v60, v60, v5, v75
	v_fma_f16 v53, v53, v7, -v78
	v_add_f16_e32 v65, v65, v58
	v_add_f16_e32 v64, v64, v52
	v_fma_f16 v61, v61, v6, v77
	v_fma_f16 v54, v54, v20, -v80
	v_fma_f16 v63, v63, v20, v66
	v_fma_f16 v11, v11, v21, -v68
	v_add_f16_e32 v67, v28, v59
	v_sub_f16_e32 v28, v28, v59
	v_add_f16_e32 v65, v65, v60
	v_add_f16_e32 v64, v64, v53
	v_fma_f16 v62, v62, v7, v79
	v_add_f16_e32 v66, v9, v11
	v_mul_f16_e32 v68, 0xb853, v28
	v_add_f16_e32 v65, v65, v61
	v_add_f16_e32 v64, v64, v54
	;; [unrolled: 1-line block ×3, first 2 shown]
	v_sub_f16_e32 v22, v22, v54
	v_sub_f16_e32 v54, v55, v63
	;; [unrolled: 1-line block ×3, first 2 shown]
	v_fma_f16 v70, v66, s2, -v68
	v_add_f16_e32 v65, v65, v62
	v_add_f16_e32 v78, v55, v63
	v_mul_f16_e32 v55, 0xbb47, v54
	v_mul_f16_e32 v69, 0xb853, v9
	v_fma_f16 v68, v66, s2, v68
	v_add_f16_e32 v70, v8, v70
	v_add_f16_e32 v65, v65, v63
	v_fma_f16 v63, v77, s3, -v55
	v_add_f16_e32 v11, v64, v11
	v_add_f16_e32 v59, v65, v59
	;; [unrolled: 1-line block ×3, first 2 shown]
	v_fma_f16 v65, v67, s2, -v69
	v_add_f16_e32 v63, v63, v70
	v_mul_f16_e32 v70, 0xbb47, v22
	v_fma_f16 v55, v77, s3, v55
	v_add_f16_sdwa v65, v8, v65 dst_sel:DWORD dst_unused:UNUSED_PAD src0_sel:WORD_1 src1_sel:DWORD
	v_mul_f16_e32 v68, 0xba0c, v28
	v_add_f16_e32 v55, v55, v64
	v_fma_f16 v64, v78, s3, -v70
	v_fma_f16 v71, v67, s2, v69
	v_fma_f16 v69, v66, s5, -v68
	v_add_f16_e32 v64, v64, v65
	v_mul_f16_e32 v65, 0x3beb, v54
	v_add_f16_e32 v69, v8, v69
	v_mul_f16_e32 v72, 0xba0c, v9
	v_fma_f16 v68, v66, s5, v68
	v_fma_f16 v79, v78, s3, v70
	v_fma_f16 v70, v77, s4, -v65
	v_add_f16_sdwa v71, v8, v71 dst_sel:DWORD dst_unused:UNUSED_PAD src0_sel:WORD_1 src1_sel:DWORD
	v_fma_f16 v73, v67, s5, v72
	v_add_f16_e32 v68, v8, v68
	v_fma_f16 v72, v67, s5, -v72
	v_mul_f16_e32 v74, 0xb482, v28
	v_add_f16_e32 v69, v70, v69
	v_mul_f16_e32 v70, 0x3beb, v22
	v_fma_f16 v65, v77, s4, v65
	v_add_f16_sdwa v72, v8, v72 dst_sel:DWORD dst_unused:UNUSED_PAD src0_sel:WORD_1 src1_sel:DWORD
	v_fma_f16 v75, v66, s14, -v74
	v_add_f16_e32 v71, v79, v71
	v_fma_f16 v79, v78, s4, v70
	v_add_f16_e32 v65, v65, v68
	v_fma_f16 v68, v78, s4, -v70
	v_mul_f16_e32 v70, 0x3853, v54
	v_add_f16_sdwa v73, v8, v73 dst_sel:DWORD dst_unused:UNUSED_PAD src0_sel:WORD_1 src1_sel:DWORD
	v_add_f16_e32 v75, v8, v75
	v_mul_f16_e32 v76, 0xb482, v9
	v_add_f16_e32 v68, v68, v72
	v_fma_f16 v72, v77, s2, -v70
	v_fma_f16 v74, v66, s14, v74
	v_add_f16_e32 v73, v79, v73
	v_fma_f16 v79, v67, s14, v76
	v_add_f16_e32 v72, v72, v75
	v_mul_f16_e32 v75, 0x3853, v22
	v_add_f16_e32 v74, v8, v74
	v_fma_f16 v76, v67, s14, -v76
	v_fma_f16 v70, v77, s2, v70
	v_fma_f16 v80, v78, s2, v75
	v_add_f16_sdwa v76, v8, v76 dst_sel:DWORD dst_unused:UNUSED_PAD src0_sel:WORD_1 src1_sel:DWORD
	v_add_f16_e32 v70, v70, v74
	v_fma_f16 v74, v78, s2, -v75
	v_add_f16_e32 v75, v23, v53
	v_sub_f16_e32 v23, v23, v53
	v_sub_f16_e32 v53, v56, v62
	v_add_f16_e32 v74, v74, v76
	v_add_f16_e32 v76, v56, v62
	v_mul_f16_e32 v56, 0xbbeb, v53
	v_fma_f16 v62, v75, s4, -v56
	v_add_f16_sdwa v79, v8, v79 dst_sel:DWORD dst_unused:UNUSED_PAD src0_sel:WORD_1 src1_sel:DWORD
	v_add_f16_e32 v62, v62, v63
	v_mul_f16_e32 v63, 0xbbeb, v23
	v_fma_f16 v56, v75, s4, v56
	v_add_f16_e32 v79, v80, v79
	v_fma_f16 v80, v76, s4, v63
	v_add_f16_e32 v55, v56, v55
	v_fma_f16 v56, v76, s4, -v63
	v_mul_f16_e32 v63, 0xb853, v53
	v_add_f16_e32 v56, v56, v64
	v_fma_f16 v64, v75, s2, -v63
	v_add_f16_e32 v64, v64, v69
	v_mul_f16_e32 v69, 0xb853, v23
	v_fma_f16 v63, v75, s2, v63
	v_add_f16_e32 v63, v63, v65
	v_fma_f16 v65, v76, s2, -v69
	v_add_f16_e32 v65, v65, v68
	v_mul_f16_e32 v68, 0xba0c, v53
	v_add_f16_e32 v71, v80, v71
	v_fma_f16 v80, v76, s2, v69
	v_fma_f16 v69, v75, s5, -v68
	v_add_f16_e32 v69, v69, v72
	v_mul_f16_e32 v72, 0xba0c, v23
	v_fma_f16 v68, v75, s5, v68
	v_add_f16_e32 v68, v68, v70
	v_fma_f16 v70, v76, s5, -v72
	v_add_f16_e32 v70, v70, v74
	v_add_f16_e32 v74, v57, v61
	v_sub_f16_e32 v57, v57, v61
	v_add_f16_e32 v73, v80, v73
	v_fma_f16 v80, v76, s5, v72
	v_add_f16_e32 v72, v25, v52
	v_sub_f16_e32 v25, v25, v52
	v_mul_f16_e32 v52, 0xba0c, v57
	v_fma_f16 v61, v72, s5, -v52
	v_add_f16_e32 v61, v61, v62
	v_mul_f16_e32 v62, 0xba0c, v25
	v_fma_f16 v52, v72, s5, v52
	v_add_f16_e32 v52, v52, v55
	v_fma_f16 v55, v74, s5, -v62
	v_add_f16_e32 v55, v55, v56
	v_mul_f16_e32 v56, 0xb482, v57
	v_add_f16_e32 v79, v80, v79
	v_fma_f16 v80, v74, s5, v62
	v_fma_f16 v62, v72, s14, -v56
	v_add_f16_e32 v62, v62, v64
	v_mul_f16_e32 v64, 0xb482, v25
	v_fma_f16 v56, v72, s14, v56
	v_add_f16_e32 v71, v80, v71
	v_fma_f16 v80, v74, s14, v64
	v_add_f16_e32 v56, v56, v63
	v_fma_f16 v63, v74, s14, -v64
	v_mul_f16_e32 v64, 0x3b47, v57
	v_add_f16_e32 v63, v63, v65
	v_fma_f16 v65, v72, s3, -v64
	v_add_f16_e32 v65, v65, v69
	v_mul_f16_e32 v69, 0x3b47, v25
	v_fma_f16 v64, v72, s3, v64
	v_add_f16_e32 v64, v64, v68
	v_fma_f16 v68, v74, s3, -v69
	v_add_f16_e32 v68, v68, v70
	v_add_f16_e32 v70, v58, v60
	v_sub_f16_e32 v58, v58, v60
	v_add_f16_e32 v73, v80, v73
	v_fma_f16 v80, v74, s3, v69
	v_add_f16_e32 v69, v26, v51
	v_sub_f16_e32 v26, v26, v51
	v_mul_f16_e32 v51, 0xb482, v58
	v_fma_f16 v60, v69, s14, -v51
	v_add_f16_e32 v60, v60, v61
	v_mul_f16_e32 v61, 0xb482, v26
	v_fma_f16 v51, v69, s14, v51
	v_add_f16_e32 v79, v80, v79
	v_fma_f16 v80, v70, s14, v61
	v_add_f16_e32 v51, v51, v52
	v_fma_f16 v52, v70, s14, -v61
	s_mov_b32 s5, 0xbb47bbeb
	s_mov_b32 s14, 0xbbebbb47
	;; [unrolled: 1-line block ×3, first 2 shown]
	v_pk_mul_f16 v28, v28, s5 op_sel_hi:[0,1]
	s_mov_b32 s5, 0xb08e36a6
	v_pk_mul_f16 v9, v9, s14 op_sel_hi:[0,1]
	v_add_f16_e32 v52, v52, v55
	v_pk_fma_f16 v55, v66, s2, v28 op_sel_hi:[0,1,1] neg_lo:[0,0,1] neg_hi:[0,0,1]
	v_pk_fma_f16 v28, v66, s2, v28 op_sel_hi:[0,1,1]
	v_pk_fma_f16 v66, v67, s5, v9 op_sel_hi:[0,1,1]
	v_pk_fma_f16 v9, v67, s5, v9 op_sel_hi:[0,1,1] neg_lo:[0,0,1] neg_hi:[0,0,1]
	s_mov_b32 s5, 0xba0c3482
	s_mov_b32 s14, 0x3482ba0c
	v_add_f16_sdwa v61, v8, v55 dst_sel:DWORD dst_unused:UNUSED_PAD src0_sel:DWORD src1_sel:WORD_1
	v_add_f16_sdwa v67, v8, v66 dst_sel:DWORD dst_unused:UNUSED_PAD src0_sel:WORD_1 src1_sel:DWORD
	v_add_f16_e32 v55, v8, v55
	v_add_f16_sdwa v66, v8, v66 dst_sel:DWORD dst_unused:UNUSED_PAD src0_sel:WORD_1 src1_sel:WORD_1
	v_pk_add_f16 v28, v8, v28 op_sel_hi:[0,1]
	v_pk_add_f16 v8, v8, v9 op_sel:[1,0]
	v_pk_mul_f16 v9, v54, s5 op_sel_hi:[0,1]
	s_mov_b32 s5, 0xbbadb93d
	v_pk_mul_f16 v22, v22, s14 op_sel_hi:[0,1]
	v_add_f16_e32 v71, v80, v71
	s_mov_b32 s2, 0xb93dbbad
	v_pk_fma_f16 v80, v78, s5, v22 op_sel_hi:[0,1,1]
	v_pk_fma_f16 v22, v78, s5, v22 op_sel_hi:[0,1,1] neg_lo:[0,0,1] neg_hi:[0,0,1]
	s_mov_b32 s5, 0x34823b47
	v_pk_fma_f16 v54, v77, s2, v9 op_sel_hi:[0,1,1] neg_lo:[0,0,1] neg_hi:[0,0,1]
	v_pk_fma_f16 v9, v77, s2, v9 op_sel_hi:[0,1,1]
	v_pk_add_f16 v8, v22, v8
	s_mov_b32 s2, 0xbbad36a6
	v_pk_mul_f16 v22, v53, s5 op_sel_hi:[0,1]
	s_mov_b32 s14, 0x3b473482
	v_add_f16_sdwa v61, v54, v61 dst_sel:DWORD dst_unused:UNUSED_PAD src0_sel:WORD_1 src1_sel:DWORD
	v_pk_add_f16 v9, v9, v28
	v_pk_fma_f16 v28, v75, s2, v22 op_sel_hi:[0,1,1] neg_lo:[0,0,1] neg_hi:[0,0,1]
	s_mov_b32 s5, 0x36a6bbad
	v_pk_mul_f16 v23, v23, s14 op_sel_hi:[0,1]
	v_pk_fma_f16 v22, v75, s2, v22 op_sel_hi:[0,1,1]
	v_add_f16_sdwa v53, v28, v61 dst_sel:DWORD dst_unused:UNUSED_PAD src0_sel:WORD_1 src1_sel:DWORD
	v_pk_fma_f16 v61, v76, s5, v23 op_sel_hi:[0,1,1]
	v_pk_add_f16 v9, v22, v9
	v_pk_fma_f16 v22, v76, s5, v23 op_sel_hi:[0,1,1] neg_lo:[0,0,1] neg_hi:[0,0,1]
	s_mov_b32 s5, 0x3bebb853
	v_pk_add_f16 v8, v22, v8
	s_mov_b32 s2, 0xb08e3abb
	v_pk_mul_f16 v22, v57, s5 op_sel_hi:[0,1]
	s_mov_b32 s14, 0xb8533beb
	v_add_f16_e32 v54, v54, v55
	v_add_f16_sdwa v55, v80, v66 dst_sel:DWORD dst_unused:UNUSED_PAD src0_sel:WORD_1 src1_sel:DWORD
	v_pk_fma_f16 v23, v72, s2, v22 op_sel_hi:[0,1,1] neg_lo:[0,0,1] neg_hi:[0,0,1]
	s_mov_b32 s5, 0x3abbb08e
	v_pk_mul_f16 v25, v25, s14 op_sel_hi:[0,1]
	v_pk_fma_f16 v22, v72, s2, v22 op_sel_hi:[0,1,1]
	v_add_f16_e32 v28, v28, v54
	v_add_f16_sdwa v54, v61, v55 dst_sel:DWORD dst_unused:UNUSED_PAD src0_sel:WORD_1 src1_sel:DWORD
	v_pk_fma_f16 v55, v74, s5, v25 op_sel_hi:[0,1,1]
	v_pk_add_f16 v9, v22, v9
	v_pk_fma_f16 v22, v74, s5, v25 op_sel_hi:[0,1,1] neg_lo:[0,0,1] neg_hi:[0,0,1]
	s_mov_b32 s5, 0x3853ba0c
	v_add_f16_e32 v67, v80, v67
	v_pk_add_f16 v8, v22, v8
	s_mov_b32 s2, 0x3abbb93d
	v_pk_mul_f16 v22, v58, s5 op_sel_hi:[0,1]
	v_add_f16_e32 v66, v61, v67
	v_add_f16_sdwa v53, v23, v53 dst_sel:DWORD dst_unused:UNUSED_PAD src0_sel:WORD_1 src1_sel:DWORD
	v_pk_fma_f16 v25, v69, s2, v22 op_sel_hi:[0,1,1] neg_lo:[0,0,1] neg_hi:[0,0,1]
	s_mov_b32 s14, 0xba0c3853
	v_add_f16_e32 v57, v55, v66
	v_add_f16_e32 v23, v23, v28
	v_add_f16_sdwa v28, v55, v54 dst_sel:DWORD dst_unused:UNUSED_PAD src0_sel:WORD_1 src1_sel:DWORD
	v_add_f16_sdwa v55, v25, v53 dst_sel:DWORD dst_unused:UNUSED_PAD src0_sel:WORD_1 src1_sel:DWORD
	s_mov_b32 s5, 0xb93d3abb
	v_pk_mul_f16 v53, v26, s14 op_sel_hi:[0,1]
	v_pk_fma_f16 v54, v70, s5, v53 op_sel_hi:[0,1,1]
	v_pk_fma_f16 v22, v69, s2, v22 op_sel_hi:[0,1,1]
	v_add_f16_e32 v57, v54, v57
	v_add_f16_e32 v23, v25, v23
	v_add_f16_sdwa v25, v54, v28 dst_sel:DWORD dst_unused:UNUSED_PAD src0_sel:WORD_1 src1_sel:DWORD
	v_pk_add_f16 v54, v22, v9
	v_pk_fma_f16 v9, v70, s5, v53 op_sel_hi:[0,1,1] neg_lo:[0,0,1] neg_hi:[0,0,1]
	v_pk_add_f16 v53, v9, v8
	v_mul_f16_e32 v8, 0x3b47, v58
	v_fma_f16 v9, v69, s3, -v8
	v_fma_f16 v8, v69, s3, v8
	v_mul_f16_e32 v22, 0x3b47, v26
	v_add_f16_e32 v8, v8, v56
	v_mul_f16_e32 v56, 0xbbeb, v58
	v_mul_f16_e32 v26, 0xbbeb, v26
	v_fma_f16 v28, v70, s3, v22
	v_fma_f16 v58, v69, s4, -v56
	v_fma_f16 v61, v70, s4, v26
	v_pack_b32_f16 v11, v11, v59
	v_pack_b32_f16 v59, v60, v71
	v_add_f16_e32 v9, v9, v62
	v_add_f16_e32 v28, v28, v73
	v_fma_f16 v22, v70, s3, -v22
	v_add_f16_e32 v58, v58, v65
	v_add_f16_e32 v61, v61, v79
	v_fma_f16 v56, v69, s4, v56
	v_fma_f16 v26, v70, s4, -v26
	ds_write2_b32 v32, v11, v59 offset1:48
	v_pack_b32_f16 v11, v55, v57
	v_pack_b32_f16 v23, v23, v25
	v_add_f16_e32 v22, v22, v63
	v_add_f16_e32 v56, v56, v64
	v_add_f16_e32 v26, v26, v68
	ds_write2_b32 v32, v11, v23 offset0:96 offset1:144
	v_pack_b32_f16 v9, v9, v28
	v_pack_b32_f16 v11, v58, v61
	ds_write2_b32 v32, v9, v11 offset0:192 offset1:240
	v_pack_b32_f16 v9, v56, v26
	v_pack_b32_f16 v8, v8, v22
	s_mov_b32 s2, 0xffff
	ds_write2_b32 v27, v9, v8 offset0:32 offset1:80
	v_bfi_b32 v8, s2, v54, v53
	v_alignbit_b32 v9, v53, v54, 16
	ds_write2_b32 v27, v8, v9 offset0:128 offset1:176
	v_pack_b32_f16 v8, v51, v52
	ds_write_b32 v32, v8 offset:1920
	s_waitcnt lgkmcnt(0)
	; wave barrier
	s_waitcnt lgkmcnt(0)
	global_load_dword v11, v[15:16], off offset:2112
	s_add_u32 s2, s12, 0x840
	s_addc_u32 s3, s13, 0
	global_load_dword v28, v32, s[2:3] offset:528
	global_load_dword v57, v32, s[2:3] offset:1056
	;; [unrolled: 1-line block ×7, first 2 shown]
	ds_read2_b32 v[8:9], v32 offset1:48
	s_waitcnt lgkmcnt(0)
	v_lshrrev_b32_e32 v22, 16, v8
	s_waitcnt vmcnt(7)
	v_mul_f16_sdwa v23, v22, v11 dst_sel:DWORD dst_unused:UNUSED_PAD src0_sel:DWORD src1_sel:WORD_1
	v_fma_f16 v23, v8, v11, -v23
	v_mul_f16_sdwa v8, v8, v11 dst_sel:DWORD dst_unused:UNUSED_PAD src0_sel:DWORD src1_sel:WORD_1
	v_fma_f16 v8, v22, v11, v8
	v_pack_b32_f16 v8, v23, v8
	ds_write_b32 v32, v8
	ds_read2_b32 v[22:23], v32 offset0:132 offset1:180
	ds_read2_b32 v[25:26], v27 offset0:8 offset1:56
	;; [unrolled: 1-line block ×3, first 2 shown]
	s_waitcnt lgkmcnt(2)
	v_lshrrev_b32_e32 v8, 16, v22
	s_waitcnt vmcnt(6)
	v_mul_f16_sdwa v11, v8, v28 dst_sel:DWORD dst_unused:UNUSED_PAD src0_sel:DWORD src1_sel:WORD_1
	v_fma_f16 v11, v22, v28, -v11
	v_mul_f16_sdwa v22, v22, v28 dst_sel:DWORD dst_unused:UNUSED_PAD src0_sel:DWORD src1_sel:WORD_1
	v_fma_f16 v8, v8, v28, v22
	v_pack_b32_f16 v8, v11, v8
	s_waitcnt lgkmcnt(1)
	v_lshrrev_b32_e32 v11, 16, v25
	s_waitcnt vmcnt(5)
	v_mul_f16_sdwa v22, v11, v57 dst_sel:DWORD dst_unused:UNUSED_PAD src0_sel:DWORD src1_sel:WORD_1
	v_fma_f16 v22, v25, v57, -v22
	v_mul_f16_sdwa v25, v25, v57 dst_sel:DWORD dst_unused:UNUSED_PAD src0_sel:DWORD src1_sel:WORD_1
	v_fma_f16 v11, v11, v57, v25
	v_pack_b32_f16 v11, v22, v11
	s_waitcnt lgkmcnt(0)
	v_lshrrev_b32_e32 v22, 16, v55
	s_waitcnt vmcnt(4)
	v_mul_f16_sdwa v25, v22, v58 dst_sel:DWORD dst_unused:UNUSED_PAD src0_sel:DWORD src1_sel:WORD_1
	v_mul_f16_sdwa v28, v55, v58 dst_sel:DWORD dst_unused:UNUSED_PAD src0_sel:DWORD src1_sel:WORD_1
	v_fma_f16 v25, v55, v58, -v25
	v_fma_f16 v22, v22, v58, v28
	v_pack_b32_f16 v22, v25, v22
	v_lshrrev_b32_e32 v25, 16, v9
	s_waitcnt vmcnt(3)
	v_mul_f16_sdwa v28, v25, v59 dst_sel:DWORD dst_unused:UNUSED_PAD src0_sel:DWORD src1_sel:WORD_1
	v_fma_f16 v28, v9, v59, -v28
	v_mul_f16_sdwa v9, v9, v59 dst_sel:DWORD dst_unused:UNUSED_PAD src0_sel:DWORD src1_sel:WORD_1
	v_fma_f16 v9, v25, v59, v9
	v_pack_b32_f16 v9, v28, v9
	ds_write2_b32 v32, v9, v8 offset0:48 offset1:132
	v_lshrrev_b32_e32 v8, 16, v23
	s_waitcnt vmcnt(2)
	v_mul_f16_sdwa v9, v8, v60 dst_sel:DWORD dst_unused:UNUSED_PAD src0_sel:DWORD src1_sel:WORD_1
	v_fma_f16 v9, v23, v60, -v9
	v_mul_f16_sdwa v23, v23, v60 dst_sel:DWORD dst_unused:UNUSED_PAD src0_sel:DWORD src1_sel:WORD_1
	v_fma_f16 v8, v8, v60, v23
	v_pack_b32_f16 v8, v9, v8
	v_add_u32_e32 v9, 0x200, v32
	ds_write2_b32 v9, v8, v11 offset0:52 offset1:136
	v_lshrrev_b32_e32 v8, 16, v26
	s_waitcnt vmcnt(1)
	v_mul_f16_sdwa v9, v8, v61 dst_sel:DWORD dst_unused:UNUSED_PAD src0_sel:DWORD src1_sel:WORD_1
	v_mul_f16_sdwa v11, v26, v61 dst_sel:DWORD dst_unused:UNUSED_PAD src0_sel:DWORD src1_sel:WORD_1
	v_fma_f16 v9, v26, v61, -v9
	v_fma_f16 v8, v8, v61, v11
	v_pack_b32_f16 v8, v9, v8
	ds_write2_b32 v27, v8, v22 offset0:56 offset1:140
	v_lshrrev_b32_e32 v8, 16, v56
	s_waitcnt vmcnt(0)
	v_mul_f16_sdwa v9, v8, v62 dst_sel:DWORD dst_unused:UNUSED_PAD src0_sel:DWORD src1_sel:WORD_1
	v_mul_f16_sdwa v11, v56, v62 dst_sel:DWORD dst_unused:UNUSED_PAD src0_sel:DWORD src1_sel:WORD_1
	v_fma_f16 v9, v56, v62, -v9
	v_fma_f16 v8, v8, v62, v11
	v_pack_b32_f16 v8, v9, v8
	ds_write_b32 v32, v8 offset:1776
	s_and_saveexec_b64 s[4:5], s[0:1]
	s_cbranch_execz .LBB0_17
; %bb.16:
	v_mov_b32_e32 v9, s3
	v_add_co_u32_e64 v8, s[2:3], s2, v32
	v_addc_co_u32_e64 v9, s[2:3], 0, v9, s[2:3]
	global_load_dword v11, v[8:9], off offset:384
	global_load_dword v22, v[8:9], off offset:912
	;; [unrolled: 1-line block ×4, first 2 shown]
	ds_read2_b32 v[8:9], v32 offset0:96 offset1:228
	s_waitcnt lgkmcnt(0)
	v_lshrrev_b32_e32 v26, 16, v8
	v_lshrrev_b32_e32 v28, 16, v9
	s_waitcnt vmcnt(3)
	v_mul_f16_sdwa v55, v26, v11 dst_sel:DWORD dst_unused:UNUSED_PAD src0_sel:DWORD src1_sel:WORD_1
	v_mul_f16_sdwa v56, v8, v11 dst_sel:DWORD dst_unused:UNUSED_PAD src0_sel:DWORD src1_sel:WORD_1
	s_waitcnt vmcnt(2)
	v_mul_f16_sdwa v57, v28, v22 dst_sel:DWORD dst_unused:UNUSED_PAD src0_sel:DWORD src1_sel:WORD_1
	v_mul_f16_sdwa v58, v9, v22 dst_sel:DWORD dst_unused:UNUSED_PAD src0_sel:DWORD src1_sel:WORD_1
	v_fma_f16 v8, v8, v11, -v55
	v_fma_f16 v11, v26, v11, v56
	v_fma_f16 v9, v9, v22, -v57
	v_fma_f16 v22, v28, v22, v58
	v_pack_b32_f16 v8, v8, v11
	v_pack_b32_f16 v9, v9, v22
	ds_write2_b32 v32, v8, v9 offset0:96 offset1:228
	ds_read2_b32 v[8:9], v27 offset0:104 offset1:236
	s_waitcnt lgkmcnt(0)
	v_lshrrev_b32_e32 v11, 16, v8
	s_waitcnt vmcnt(1)
	v_mul_f16_sdwa v22, v8, v23 dst_sel:DWORD dst_unused:UNUSED_PAD src0_sel:DWORD src1_sel:WORD_1
	v_lshrrev_b32_e32 v26, 16, v9
	s_waitcnt vmcnt(0)
	v_mul_f16_sdwa v28, v9, v25 dst_sel:DWORD dst_unused:UNUSED_PAD src0_sel:DWORD src1_sel:WORD_1
	v_mul_f16_sdwa v55, v11, v23 dst_sel:DWORD dst_unused:UNUSED_PAD src0_sel:DWORD src1_sel:WORD_1
	v_fma_f16 v11, v11, v23, v22
	v_mul_f16_sdwa v22, v26, v25 dst_sel:DWORD dst_unused:UNUSED_PAD src0_sel:DWORD src1_sel:WORD_1
	v_fma_f16 v26, v26, v25, v28
	v_fma_f16 v8, v8, v23, -v55
	v_fma_f16 v9, v9, v25, -v22
	v_pack_b32_f16 v8, v8, v11
	v_pack_b32_f16 v9, v9, v26
	ds_write2_b32 v27, v8, v9 offset0:104 offset1:236
.LBB0_17:
	s_or_b64 exec, exec, s[4:5]
	s_waitcnt lgkmcnt(0)
	; wave barrier
	s_waitcnt lgkmcnt(0)
	ds_read2_b32 v[8:9], v32 offset1:48
	ds_read2_b32 v[25:26], v32 offset0:132 offset1:180
	ds_read2_b32 v[22:23], v27 offset0:8 offset1:56
	;; [unrolled: 1-line block ×3, first 2 shown]
	s_mov_b32 s4, 0x5040100
	v_lshrrev_b32_e32 v55, 16, v53
	v_lshrrev_b32_e32 v11, 16, v54
	v_perm_b32 v52, v52, v24, s4
	v_perm_b32 v51, v10, v51, s4
	v_mov_b32_e32 v24, v53
	v_mov_b32_e32 v10, v54
	s_and_saveexec_b64 s[2:3], s[0:1]
	s_cbranch_execz .LBB0_19
; %bb.18:
	v_add_u32_e32 v24, 0x400, v32
	ds_read2_b32 v[10:11], v32 offset0:96 offset1:228
	ds_read2_b32 v[56:57], v24 offset0:104 offset1:236
	s_mov_b32 s5, 0x7060302
	s_waitcnt lgkmcnt(1)
	v_lshrrev_b32_e32 v55, 16, v10
	v_lshrrev_b32_e32 v24, 16, v11
	v_perm_b32 v53, v10, v11, s5
	s_waitcnt lgkmcnt(0)
	v_perm_b32 v52, v56, v57, s5
	v_perm_b32 v54, v11, v10, s4
	;; [unrolled: 1-line block ×3, first 2 shown]
.LBB0_19:
	s_or_b64 exec, exec, s[2:3]
	s_waitcnt lgkmcnt(1)
	v_pk_add_f16 v56, v8, v22 neg_lo:[0,1] neg_hi:[0,1]
	s_waitcnt lgkmcnt(0)
	v_pk_add_f16 v27, v25, v27 neg_lo:[0,1] neg_hi:[0,1]
	v_lshrrev_b32_e32 v22, 16, v56
	v_sub_f16_e32 v58, v22, v27
	v_pk_add_f16 v61, v9, v23 neg_lo:[0,1] neg_hi:[0,1]
	v_fma_f16 v60, v22, 2.0, -v58
	v_pk_add_f16 v28, v26, v28 neg_lo:[0,1] neg_hi:[0,1]
	v_lshrrev_b32_e32 v22, 16, v61
	v_sub_f16_e32 v63, v22, v28
	v_pk_add_f16 v23, v54, v51 neg_lo:[0,1] neg_hi:[0,1]
	v_fma_f16 v65, v22, 2.0, -v63
	v_pk_add_f16 v53, v53, v52 neg_lo:[0,1] neg_hi:[0,1]
	v_lshrrev_b32_e32 v22, 16, v23
	v_fma_f16 v10, v10, 2.0, -v23
	v_lshrrev_b32_e32 v54, 16, v53
	v_fma_f16 v11, v11, 2.0, -v22
	v_fma_f16 v51, v55, 2.0, -v54
	v_fma_f16 v22, v24, 2.0, -v53
	v_sub_f16_e32 v24, v10, v11
	v_sub_f16_e32 v52, v51, v22
	v_fma_f16 v22, v10, 2.0, -v24
	v_pk_add_f16 v10, v53, v23
	v_pk_add_f16 v53, v53, v23 neg_lo:[0,1] neg_hi:[0,1]
	s_mov_b32 s2, 0xffff
	v_bfi_b32 v11, s2, v10, v53
	v_fma_f16 v23, v23, 2.0, -v10
	v_lshrrev_b32_e32 v10, 16, v53
	v_add_f16_sdwa v57, v56, v27 dst_sel:DWORD dst_unused:UNUSED_PAD src0_sel:DWORD src1_sel:WORD_1
	v_fma_f16 v53, v54, 2.0, -v10
	v_pk_fma_f16 v8, v8, 2.0, v56 op_sel_hi:[1,0,1] neg_lo:[0,0,1] neg_hi:[0,0,1]
	v_pk_fma_f16 v10, v25, 2.0, v27 op_sel_hi:[1,0,1] neg_lo:[0,0,1] neg_hi:[0,0,1]
	v_fma_f16 v59, v56, 2.0, -v57
	v_pk_add_f16 v56, v8, v10 neg_lo:[0,1] neg_hi:[0,1]
	v_add_f16_sdwa v62, v61, v28 dst_sel:DWORD dst_unused:UNUSED_PAD src0_sel:DWORD src1_sel:WORD_1
	v_pk_fma_f16 v54, v8, 2.0, v56 op_sel_hi:[1,0,1] neg_lo:[0,0,1] neg_hi:[0,0,1]
	v_pk_fma_f16 v8, v9, 2.0, v61 op_sel_hi:[1,0,1] neg_lo:[0,0,1] neg_hi:[0,0,1]
	;; [unrolled: 1-line block ×3, first 2 shown]
	v_fma_f16 v64, v61, 2.0, -v62
	v_pk_add_f16 v27, v8, v9 neg_lo:[0,1] neg_hi:[0,1]
	v_fma_f16 v51, v51, 2.0, -v52
	v_pack_b32_f16 v57, v57, v58
	v_pack_b32_f16 v55, v59, v60
	v_pk_fma_f16 v25, v8, 2.0, v27 op_sel_hi:[1,0,1] neg_lo:[0,0,1] neg_hi:[0,0,1]
	v_pack_b32_f16 v28, v62, v63
	v_pack_b32_f16 v26, v64, v65
	s_waitcnt lgkmcnt(0)
	; wave barrier
	ds_write_b128 v31, v[54:57]
	ds_write_b128 v30, v[25:28]
	s_and_saveexec_b64 s[2:3], s[0:1]
	s_cbranch_execz .LBB0_21
; %bb.20:
	v_perm_b32 v10, v52, v24, s4
	v_perm_b32 v9, v53, v23, s4
	;; [unrolled: 1-line block ×3, first 2 shown]
	ds_write_b128 v29, v[8:11]
.LBB0_21:
	s_or_b64 exec, exec, s[2:3]
	v_add_u32_e32 v10, 0x400, v32
	s_waitcnt lgkmcnt(0)
	; wave barrier
	s_waitcnt lgkmcnt(0)
	ds_read2_b32 v[8:9], v32 offset1:48
	ds_read2_b32 v[28:29], v32 offset0:132 offset1:180
	ds_read2_b32 v[30:31], v10 offset0:8 offset1:56
	;; [unrolled: 1-line block ×3, first 2 shown]
	s_and_saveexec_b64 s[2:3], s[0:1]
	s_cbranch_execz .LBB0_23
; %bb.22:
	ds_read2_b32 v[22:23], v32 offset0:96 offset1:228
	ds_read2_b32 v[24:25], v10 offset0:104 offset1:236
	s_waitcnt lgkmcnt(1)
	v_lshrrev_b32_e32 v51, 16, v22
	v_lshrrev_b32_e32 v53, 16, v23
	s_waitcnt lgkmcnt(0)
	v_lshrrev_b32_e32 v52, 16, v24
	v_mov_b32_e32 v11, v25
.LBB0_23:
	s_or_b64 exec, exec, s[2:3]
	s_waitcnt lgkmcnt(2)
	v_lshrrev_b32_e32 v25, 16, v28
	v_mul_f16_sdwa v60, v12, v25 dst_sel:DWORD dst_unused:UNUSED_PAD src0_sel:WORD_1 src1_sel:DWORD
	s_waitcnt lgkmcnt(1)
	v_lshrrev_b32_e32 v54, 16, v30
	v_fma_f16 v60, v12, v28, v60
	v_mul_f16_sdwa v28, v12, v28 dst_sel:DWORD dst_unused:UNUSED_PAD src0_sel:WORD_1 src1_sel:DWORD
	v_fma_f16 v25, v12, v25, -v28
	v_mul_f16_sdwa v28, v13, v54 dst_sel:DWORD dst_unused:UNUSED_PAD src0_sel:WORD_1 src1_sel:DWORD
	s_waitcnt lgkmcnt(0)
	v_lshrrev_b32_e32 v55, 16, v26
	v_fma_f16 v28, v13, v30, v28
	v_mul_f16_sdwa v30, v13, v30 dst_sel:DWORD dst_unused:UNUSED_PAD src0_sel:WORD_1 src1_sel:DWORD
	v_fma_f16 v30, v13, v54, -v30
	v_mul_f16_sdwa v54, v14, v55 dst_sel:DWORD dst_unused:UNUSED_PAD src0_sel:WORD_1 src1_sel:DWORD
	v_lshrrev_b32_e32 v57, 16, v29
	v_fma_f16 v54, v14, v26, v54
	v_mul_f16_sdwa v26, v14, v26 dst_sel:DWORD dst_unused:UNUSED_PAD src0_sel:WORD_1 src1_sel:DWORD
	v_fma_f16 v26, v14, v55, -v26
	v_mul_f16_sdwa v55, v12, v57 dst_sel:DWORD dst_unused:UNUSED_PAD src0_sel:WORD_1 src1_sel:DWORD
	;; [unrolled: 5-line block ×4, first 2 shown]
	v_fma_f16 v58, v14, v27, v58
	v_mul_f16_sdwa v27, v14, v27 dst_sel:DWORD dst_unused:UNUSED_PAD src0_sel:WORD_1 src1_sel:DWORD
	v_fma_f16 v27, v14, v59, -v27
	v_mul_f16_sdwa v59, v12, v53 dst_sel:DWORD dst_unused:UNUSED_PAD src0_sel:WORD_1 src1_sel:DWORD
	v_fma_f16 v59, v12, v23, v59
	v_mul_f16_sdwa v23, v12, v23 dst_sel:DWORD dst_unused:UNUSED_PAD src0_sel:WORD_1 src1_sel:DWORD
	v_fma_f16 v12, v12, v53, -v23
	v_mul_f16_sdwa v23, v13, v52 dst_sel:DWORD dst_unused:UNUSED_PAD src0_sel:WORD_1 src1_sel:DWORD
	v_fma_f16 v23, v13, v24, v23
	v_mul_f16_sdwa v24, v13, v24 dst_sel:DWORD dst_unused:UNUSED_PAD src0_sel:WORD_1 src1_sel:DWORD
	v_fma_f16 v13, v13, v52, -v24
	v_lshrrev_b32_e32 v24, 16, v11
	v_mul_f16_sdwa v52, v14, v24 dst_sel:DWORD dst_unused:UNUSED_PAD src0_sel:WORD_1 src1_sel:DWORD
	v_fma_f16 v52, v14, v11, v52
	v_mul_f16_sdwa v11, v14, v11 dst_sel:DWORD dst_unused:UNUSED_PAD src0_sel:WORD_1 src1_sel:DWORD
	v_lshrrev_b32_e32 v10, 16, v8
	v_fma_f16 v14, v14, v24, -v11
	v_sub_f16_e32 v11, v8, v28
	v_sub_f16_e32 v28, v60, v54
	;; [unrolled: 1-line block ×3, first 2 shown]
	v_fma_f16 v8, v8, 2.0, -v11
	v_sub_f16_e32 v26, v25, v26
	v_fma_f16 v30, v60, 2.0, -v28
	v_fma_f16 v10, v10, 2.0, -v24
	;; [unrolled: 1-line block ×3, first 2 shown]
	v_sub_f16_e32 v30, v8, v30
	v_lshrrev_b32_e32 v56, 16, v9
	v_sub_f16_e32 v25, v10, v25
	v_fma_f16 v53, v8, 2.0, -v30
	v_sub_f16_e32 v8, v9, v57
	v_sub_f16_e32 v27, v29, v27
	v_fma_f16 v54, v10, 2.0, -v25
	v_add_f16_e32 v60, v11, v26
	v_sub_f16_e32 v10, v56, v31
	v_sub_f16_e32 v26, v55, v58
	v_add_f16_e32 v57, v8, v27
	v_fma_f16 v62, v11, 2.0, -v60
	v_fma_f16 v9, v9, 2.0, -v8
	;; [unrolled: 1-line block ×4, first 2 shown]
	v_sub_f16_e32 v58, v10, v26
	v_fma_f16 v63, v8, 2.0, -v57
	v_sub_f16_e32 v8, v22, v23
	v_sub_f16_e32 v61, v24, v28
	v_fma_f16 v28, v55, 2.0, -v26
	v_sub_f16_e32 v29, v11, v29
	v_fma_f16 v64, v10, 2.0, -v58
	;; [unrolled: 2-line block ×3, first 2 shown]
	v_sub_f16_e32 v22, v59, v52
	v_sub_f16_e32 v14, v12, v14
	v_fma_f16 v24, v24, 2.0, -v61
	v_sub_f16_e32 v31, v9, v28
	v_fma_f16 v56, v11, 2.0, -v29
	v_fma_f16 v11, v51, 2.0, -v13
	;; [unrolled: 1-line block ×3, first 2 shown]
	v_sub_f16_e32 v28, v13, v22
	v_sub_f16_e32 v27, v11, v12
	v_add_f16_e32 v26, v8, v14
	v_fma_f16 v14, v13, 2.0, -v28
	v_pack_b32_f16 v12, v53, v54
	v_pack_b32_f16 v13, v62, v24
	v_fma_f16 v55, v9, 2.0, -v31
	s_waitcnt lgkmcnt(0)
	; wave barrier
	ds_write2_b32 v45, v12, v13 offset1:4
	v_pack_b32_f16 v12, v30, v25
	v_pack_b32_f16 v13, v60, v61
	v_fma_f16 v9, v59, 2.0, -v22
	ds_write2_b32 v45, v12, v13 offset0:8 offset1:12
	v_pack_b32_f16 v12, v55, v56
	v_pack_b32_f16 v13, v63, v64
	v_sub_f16_e32 v9, v10, v9
	v_fma_f16 v8, v8, 2.0, -v26
	ds_write2_b32 v46, v12, v13 offset1:4
	v_pack_b32_f16 v12, v31, v29
	v_pack_b32_f16 v13, v57, v58
	ds_write2_b32 v46, v12, v13 offset0:8 offset1:12
	s_and_saveexec_b64 s[2:3], s[0:1]
	s_cbranch_execz .LBB0_25
; %bb.24:
	s_movk_i32 s4, 0x3f0
	v_fma_f16 v10, v10, 2.0, -v9
	v_fma_f16 v11, v11, 2.0, -v27
	v_and_or_b32 v12, v44, s4, v42
	s_mov_b32 s4, 0x5040100
	v_lshlrev_b32_e32 v12, 2, v12
	v_pack_b32_f16 v10, v10, v11
	v_perm_b32 v11, v14, v8, s4
	ds_write2_b32 v12, v10, v11 offset1:4
	v_perm_b32 v10, v27, v9, s4
	v_perm_b32 v11, v28, v26, s4
	ds_write2_b32 v12, v10, v11 offset0:8 offset1:12
.LBB0_25:
	s_or_b64 exec, exec, s[2:3]
	v_add_u32_e32 v22, 0x400, v32
	v_add_u32_e32 v30, 0x200, v32
	s_waitcnt lgkmcnt(0)
	; wave barrier
	s_waitcnt lgkmcnt(0)
	ds_read2_b32 v[12:13], v32 offset1:48
	ds_read2_b32 v[10:11], v32 offset0:96 offset1:176
	ds_read2_b32 v[24:25], v22 offset0:96 offset1:144
	ds_read2_b32 v[22:23], v30 offset0:96 offset1:144
	ds_read_b32 v29, v32 offset:1792
	s_and_saveexec_b64 s[2:3], vcc
	s_cbranch_execz .LBB0_27
; %bb.26:
	ds_read2_b32 v[8:9], v30 offset0:16 offset1:192
	ds_read_b32 v26, v32 offset:1984
	s_waitcnt lgkmcnt(1)
	v_lshrrev_b32_e32 v14, 16, v8
	v_lshrrev_b32_e32 v27, 16, v9
	s_waitcnt lgkmcnt(0)
	v_lshrrev_b32_e32 v28, 16, v26
.LBB0_27:
	s_or_b64 exec, exec, s[2:3]
	s_waitcnt lgkmcnt(3)
	v_lshrrev_b32_e32 v31, 16, v11
	v_mul_f16_sdwa v54, v18, v31 dst_sel:DWORD dst_unused:UNUSED_PAD src0_sel:WORD_1 src1_sel:DWORD
	s_waitcnt lgkmcnt(2)
	v_lshrrev_b32_e32 v42, 16, v24
	v_fma_f16 v54, v18, v11, v54
	v_mul_f16_sdwa v11, v18, v11 dst_sel:DWORD dst_unused:UNUSED_PAD src0_sel:WORD_1 src1_sel:DWORD
	v_fma_f16 v11, v18, v31, -v11
	v_mul_f16_sdwa v31, v19, v42 dst_sel:DWORD dst_unused:UNUSED_PAD src0_sel:WORD_1 src1_sel:DWORD
	s_waitcnt lgkmcnt(1)
	v_lshrrev_b32_e32 v45, 16, v22
	v_fma_f16 v31, v19, v24, v31
	v_mul_f16_sdwa v24, v19, v24 dst_sel:DWORD dst_unused:UNUSED_PAD src0_sel:WORD_1 src1_sel:DWORD
	v_fma_f16 v24, v19, v42, -v24
	v_mul_f16_sdwa v42, v18, v45 dst_sel:DWORD dst_unused:UNUSED_PAD src0_sel:WORD_1 src1_sel:DWORD
	v_lshrrev_b32_e32 v46, 16, v25
	v_fma_f16 v42, v18, v22, v42
	v_mul_f16_sdwa v22, v18, v22 dst_sel:DWORD dst_unused:UNUSED_PAD src0_sel:WORD_1 src1_sel:DWORD
	v_fma_f16 v22, v18, v45, -v22
	v_mul_f16_sdwa v45, v19, v46 dst_sel:DWORD dst_unused:UNUSED_PAD src0_sel:WORD_1 src1_sel:DWORD
	;; [unrolled: 5-line block ×3, first 2 shown]
	s_waitcnt lgkmcnt(0)
	v_lshrrev_b32_e32 v53, 16, v29
	v_fma_f16 v46, v18, v23, v46
	v_mul_f16_sdwa v23, v18, v23 dst_sel:DWORD dst_unused:UNUSED_PAD src0_sel:WORD_1 src1_sel:DWORD
	v_fma_f16 v23, v18, v52, -v23
	v_mul_f16_sdwa v52, v19, v53 dst_sel:DWORD dst_unused:UNUSED_PAD src0_sel:WORD_1 src1_sel:DWORD
	v_fma_f16 v52, v19, v29, v52
	v_mul_f16_sdwa v29, v19, v29 dst_sel:DWORD dst_unused:UNUSED_PAD src0_sel:WORD_1 src1_sel:DWORD
	v_add_f16_e32 v55, v54, v31
	v_lshrrev_b32_e32 v30, 16, v12
	v_fma_f16 v29, v19, v53, -v29
	v_add_f16_e32 v53, v12, v54
	v_fma_f16 v12, v55, -0.5, v12
	v_sub_f16_e32 v55, v11, v24
	s_mov_b32 s4, 0xbaee
	s_movk_i32 s5, 0x3aee
	v_fma_f16 v56, v55, s4, v12
	v_fma_f16 v12, v55, s5, v12
	v_add_f16_e32 v55, v30, v11
	v_add_f16_e32 v11, v11, v24
	;; [unrolled: 1-line block ×4, first 2 shown]
	v_fma_f16 v11, v11, -0.5, v30
	v_sub_f16_e32 v24, v54, v31
	v_add_f16_e32 v31, v42, v45
	v_lshrrev_b32_e32 v44, 16, v13
	v_fma_f16 v30, v24, s5, v11
	v_fma_f16 v11, v24, s4, v11
	v_add_f16_e32 v24, v13, v42
	v_fma_f16 v13, v31, -0.5, v13
	v_sub_f16_e32 v31, v22, v25
	v_fma_f16 v54, v31, s4, v13
	v_fma_f16 v13, v31, s5, v13
	v_add_f16_e32 v31, v44, v22
	v_add_f16_e32 v22, v22, v25
	;; [unrolled: 1-line block ×3, first 2 shown]
	v_fma_f16 v22, v22, -0.5, v44
	v_sub_f16_e32 v25, v42, v45
	v_add_f16_e32 v44, v46, v52
	v_lshrrev_b32_e32 v51, 16, v10
	v_fma_f16 v42, v25, s5, v22
	v_fma_f16 v22, v25, s4, v22
	v_add_f16_e32 v25, v10, v46
	v_fma_f16 v10, v44, -0.5, v10
	v_sub_f16_e32 v44, v23, v29
	v_add_f16_e32 v24, v24, v45
	v_fma_f16 v45, v44, s4, v10
	v_fma_f16 v10, v44, s5, v10
	v_add_f16_e32 v44, v51, v23
	v_add_f16_e32 v23, v23, v29
	;; [unrolled: 1-line block ×3, first 2 shown]
	v_fma_f16 v23, v23, -0.5, v51
	v_sub_f16_e32 v29, v46, v52
	v_pack_b32_f16 v11, v12, v11
	v_fma_f16 v46, v29, s5, v23
	v_fma_f16 v23, v29, s4, v23
	s_waitcnt lgkmcnt(0)
	; wave barrier
	v_pack_b32_f16 v29, v53, v55
	v_pack_b32_f16 v30, v56, v30
	ds_write_b32 v48, v11 offset:128
	v_pack_b32_f16 v11, v24, v31
	v_pack_b32_f16 v12, v54, v42
	v_add_f16_e32 v25, v25, v52
	ds_write2_b32 v48, v29, v30 offset1:16
	ds_write2_b32 v49, v11, v12 offset1:16
	v_pack_b32_f16 v11, v13, v22
	ds_write_b32 v49, v11 offset:128
	v_pack_b32_f16 v11, v25, v44
	v_pack_b32_f16 v12, v45, v46
	;; [unrolled: 1-line block ×3, first 2 shown]
	ds_write2_b32 v50, v11, v12 offset1:16
	ds_write_b32 v50, v10 offset:128
	s_and_saveexec_b64 s[2:3], vcc
	s_cbranch_execz .LBB0_29
; %bb.28:
	v_mul_f16_sdwa v13, v18, v27 dst_sel:DWORD dst_unused:UNUSED_PAD src0_sel:WORD_1 src1_sel:DWORD
	v_mul_f16_sdwa v10, v18, v9 dst_sel:DWORD dst_unused:UNUSED_PAD src0_sel:WORD_1 src1_sel:DWORD
	;; [unrolled: 1-line block ×3, first 2 shown]
	v_fma_f16 v9, v18, v9, v13
	v_mul_f16_sdwa v13, v19, v28 dst_sel:DWORD dst_unused:UNUSED_PAD src0_sel:WORD_1 src1_sel:DWORD
	v_fma_f16 v10, v18, v27, -v10
	v_fma_f16 v11, v19, v28, -v11
	v_fma_f16 v13, v19, v26, v13
	v_add_f16_e32 v12, v11, v10
	v_add_f16_e32 v22, v13, v9
	v_fma_f16 v12, v12, -0.5, v14
	v_sub_f16_e32 v18, v9, v13
	v_fma_f16 v22, v22, -0.5, v8
	v_sub_f16_e32 v23, v10, v11
	v_add_f16_e32 v10, v10, v14
	v_add_f16_e32 v8, v8, v9
	v_mul_u32_u24_e32 v9, 48, v47
	v_fma_f16 v19, v18, s4, v12
	v_fma_f16 v12, v18, s5, v12
	;; [unrolled: 1-line block ×3, first 2 shown]
	v_add_f16_e32 v10, v11, v10
	v_add_f16_e32 v8, v13, v8
	v_or_b32_e32 v9, v9, v43
	v_fma_f16 v24, v23, s5, v22
	v_lshlrev_b32_e32 v9, 2, v9
	v_pack_b32_f16 v8, v8, v10
	v_pack_b32_f16 v10, v18, v12
	ds_write2_b32 v9, v8, v10 offset1:16
	v_pack_b32_f16 v8, v24, v19
	ds_write_b32 v9, v8 offset:128
.LBB0_29:
	s_or_b64 exec, exec, s[2:3]
	s_waitcnt lgkmcnt(0)
	; wave barrier
	s_waitcnt lgkmcnt(0)
	ds_read2_b32 v[9:10], v32 offset1:48
	ds_read2_b32 v[11:12], v32 offset0:96 offset1:144
	ds_read2_b32 v[13:14], v32 offset0:192 offset1:240
	v_add_u32_e32 v8, 0x400, v32
	ds_read2_b32 v[18:19], v8 offset0:32 offset1:80
	s_waitcnt lgkmcnt(3)
	v_lshrrev_b32_e32 v24, 16, v10
	v_mul_f16_sdwa v45, v0, v24 dst_sel:DWORD dst_unused:UNUSED_PAD src0_sel:WORD_1 src1_sel:DWORD
	s_waitcnt lgkmcnt(2)
	v_lshrrev_b32_e32 v25, 16, v11
	v_fma_f16 v45, v0, v10, v45
	v_mul_f16_sdwa v10, v0, v10 dst_sel:DWORD dst_unused:UNUSED_PAD src0_sel:WORD_1 src1_sel:DWORD
	v_fma_f16 v0, v0, v24, -v10
	v_mul_f16_sdwa v10, v1, v25 dst_sel:DWORD dst_unused:UNUSED_PAD src0_sel:WORD_1 src1_sel:DWORD
	v_lshrrev_b32_e32 v26, 16, v12
	v_fma_f16 v10, v1, v11, v10
	v_mul_f16_sdwa v11, v1, v11 dst_sel:DWORD dst_unused:UNUSED_PAD src0_sel:WORD_1 src1_sel:DWORD
	v_fma_f16 v1, v1, v25, -v11
	v_mul_f16_sdwa v11, v2, v26 dst_sel:DWORD dst_unused:UNUSED_PAD src0_sel:WORD_1 src1_sel:DWORD
	s_waitcnt lgkmcnt(1)
	v_lshrrev_b32_e32 v27, 16, v13
	v_fma_f16 v11, v2, v12, v11
	v_mul_f16_sdwa v12, v2, v12 dst_sel:DWORD dst_unused:UNUSED_PAD src0_sel:WORD_1 src1_sel:DWORD
	v_fma_f16 v2, v2, v26, -v12
	v_mul_f16_sdwa v12, v3, v27 dst_sel:DWORD dst_unused:UNUSED_PAD src0_sel:WORD_1 src1_sel:DWORD
	v_lshrrev_b32_e32 v28, 16, v14
	v_fma_f16 v12, v3, v13, v12
	v_mul_f16_sdwa v13, v3, v13 dst_sel:DWORD dst_unused:UNUSED_PAD src0_sel:WORD_1 src1_sel:DWORD
	ds_read2_b32 v[22:23], v8 offset0:128 offset1:176
	v_fma_f16 v3, v3, v27, -v13
	v_mul_f16_sdwa v13, v4, v28 dst_sel:DWORD dst_unused:UNUSED_PAD src0_sel:WORD_1 src1_sel:DWORD
	s_waitcnt lgkmcnt(1)
	v_lshrrev_b32_e32 v30, 16, v18
	v_fma_f16 v13, v4, v14, v13
	v_mul_f16_sdwa v14, v4, v14 dst_sel:DWORD dst_unused:UNUSED_PAD src0_sel:WORD_1 src1_sel:DWORD
	v_fma_f16 v4, v4, v28, -v14
	v_mul_f16_sdwa v14, v5, v30 dst_sel:DWORD dst_unused:UNUSED_PAD src0_sel:WORD_1 src1_sel:DWORD
	v_lshrrev_b32_e32 v31, 16, v19
	v_fma_f16 v14, v5, v18, v14
	v_mul_f16_sdwa v18, v5, v18 dst_sel:DWORD dst_unused:UNUSED_PAD src0_sel:WORD_1 src1_sel:DWORD
	ds_read_b32 v29, v32 offset:1920
	v_fma_f16 v5, v5, v30, -v18
	v_mul_f16_sdwa v18, v6, v31 dst_sel:DWORD dst_unused:UNUSED_PAD src0_sel:WORD_1 src1_sel:DWORD
	s_waitcnt lgkmcnt(1)
	v_lshrrev_b32_e32 v42, 16, v22
	v_fma_f16 v18, v6, v19, v18
	v_mul_f16_sdwa v19, v6, v19 dst_sel:DWORD dst_unused:UNUSED_PAD src0_sel:WORD_1 src1_sel:DWORD
	v_fma_f16 v6, v6, v31, -v19
	v_mul_f16_sdwa v19, v7, v42 dst_sel:DWORD dst_unused:UNUSED_PAD src0_sel:WORD_1 src1_sel:DWORD
	v_lshrrev_b32_e32 v43, 16, v23
	v_fma_f16 v19, v7, v22, v19
	v_mul_f16_sdwa v22, v7, v22 dst_sel:DWORD dst_unused:UNUSED_PAD src0_sel:WORD_1 src1_sel:DWORD
	v_fma_f16 v7, v7, v42, -v22
	v_mul_f16_sdwa v22, v20, v43 dst_sel:DWORD dst_unused:UNUSED_PAD src0_sel:WORD_1 src1_sel:DWORD
	s_waitcnt lgkmcnt(0)
	v_lshrrev_b32_e32 v44, 16, v29
	v_fma_f16 v22, v20, v23, v22
	v_mul_f16_sdwa v23, v20, v23 dst_sel:DWORD dst_unused:UNUSED_PAD src0_sel:WORD_1 src1_sel:DWORD
	v_fma_f16 v20, v20, v43, -v23
	v_mul_f16_sdwa v23, v21, v44 dst_sel:DWORD dst_unused:UNUSED_PAD src0_sel:WORD_1 src1_sel:DWORD
	v_mul_f16_sdwa v24, v21, v29 dst_sel:DWORD dst_unused:UNUSED_PAD src0_sel:WORD_1 src1_sel:DWORD
	v_fma_f16 v23, v21, v29, v23
	v_fma_f16 v21, v21, v44, -v24
	v_add_f16_e32 v24, v9, v45
	v_add_f16_sdwa v25, v9, v0 dst_sel:DWORD dst_unused:UNUSED_PAD src0_sel:WORD_1 src1_sel:DWORD
	v_add_f16_e32 v24, v24, v10
	v_add_f16_e32 v25, v25, v1
	;; [unrolled: 1-line block ×17, first 2 shown]
	v_sub_f16_e32 v0, v0, v21
	v_add_f16_e32 v24, v24, v23
	v_add_f16_e32 v25, v25, v21
	v_add_f16_e32 v26, v45, v23
	v_sub_f16_e32 v23, v45, v23
	s_mov_b32 s13, 0xb853
	v_mul_f16_e32 v21, 0xb853, v0
	s_movk_i32 s14, 0x3abb
	v_mul_f16_e32 v29, 0x3abb, v27
	s_movk_i32 s15, 0x3853
	s_mov_b32 s3, 0xbb47
	v_mul_f16_e32 v31, 0xbb47, v0
	s_movk_i32 s4, 0x36a6
	v_mul_f16_e32 v43, 0x36a6, v27
	s_movk_i32 s5, 0x3b47
	s_mov_b32 s2, 0xbbeb
	v_mul_f16_e32 v45, 0xbbeb, v0
	s_mov_b32 s12, 0xb08e
	v_mul_f16_e32 v47, 0xb08e, v27
	s_movk_i32 s16, 0x3beb
	s_mov_b32 s17, 0xba0c
	v_mul_f16_e32 v49, 0xba0c, v0
	s_mov_b32 s18, 0xb93d
	;; [unrolled: 5-line block ×3, first 2 shown]
	v_mul_f16_e32 v27, 0xbbad, v27
	s_movk_i32 s22, 0x3482
	v_fma_f16 v28, v26, s14, v21
	v_fma_f16 v30, v23, s15, v29
	v_fma_f16 v21, v26, s14, -v21
	v_fma_f16 v29, v23, s13, v29
	v_fma_f16 v42, v26, s4, v31
	v_fma_f16 v44, v23, s5, v43
	v_fma_f16 v31, v26, s4, -v31
	v_fma_f16 v43, v23, s3, v43
	;; [unrolled: 4-line block ×5, first 2 shown]
	v_add_f16_e32 v26, v1, v20
	v_sub_f16_e32 v1, v1, v20
	v_add_f16_e32 v28, v9, v28
	v_add_f16_sdwa v30, v9, v30 dst_sel:DWORD dst_unused:UNUSED_PAD src0_sel:WORD_1 src1_sel:DWORD
	v_add_f16_e32 v21, v9, v21
	v_add_f16_sdwa v29, v9, v29 dst_sel:DWORD dst_unused:UNUSED_PAD src0_sel:WORD_1 src1_sel:DWORD
	;; [unrolled: 2-line block ×10, first 2 shown]
	v_add_f16_e32 v23, v10, v22
	v_mul_f16_e32 v20, 0xbb47, v1
	v_sub_f16_e32 v10, v10, v22
	v_fma_f16 v22, v23, s4, v20
	v_mul_f16_e32 v27, 0x36a6, v26
	v_fma_f16 v20, v23, s4, -v20
	v_add_f16_e32 v22, v22, v28
	v_fma_f16 v28, v10, s5, v27
	v_add_f16_e32 v20, v20, v21
	v_fma_f16 v21, v10, s3, v27
	v_mul_f16_e32 v27, 0xba0c, v1
	v_add_f16_e32 v28, v28, v30
	v_add_f16_e32 v21, v21, v29
	v_fma_f16 v29, v23, s18, v27
	v_mul_f16_e32 v30, 0xb93d, v26
	v_fma_f16 v27, v23, s18, -v27
	v_add_f16_e32 v29, v29, v42
	v_fma_f16 v42, v10, s19, v30
	v_add_f16_e32 v27, v27, v31
	v_fma_f16 v30, v10, s17, v30
	v_mul_f16_e32 v31, 0x3482, v1
	v_add_f16_e32 v42, v42, v44
	v_add_f16_e32 v30, v30, v43
	;; [unrolled: 10-line block ×3, first 2 shown]
	v_fma_f16 v47, v23, s12, v45
	v_mul_f16_e32 v48, 0xb08e, v26
	v_fma_f16 v45, v23, s12, -v45
	v_mul_f16_e32 v1, 0x3853, v1
	v_add_f16_e32 v47, v47, v50
	v_fma_f16 v50, v10, s2, v48
	v_add_f16_e32 v45, v45, v49
	v_fma_f16 v48, v10, s16, v48
	v_fma_f16 v49, v23, s14, v1
	v_mul_f16_e32 v26, 0x3abb, v26
	v_fma_f16 v1, v23, s14, -v1
	v_add_f16_e32 v48, v48, v51
	v_fma_f16 v51, v10, s13, v26
	v_add_f16_e32 v0, v1, v0
	v_fma_f16 v1, v10, s15, v26
	v_add_f16_e32 v10, v2, v7
	v_sub_f16_e32 v2, v2, v7
	v_add_f16_e32 v1, v1, v9
	v_add_f16_e32 v9, v11, v19
	v_mul_f16_e32 v7, 0xbbeb, v2
	v_sub_f16_e32 v11, v11, v19
	v_fma_f16 v19, v9, s12, v7
	v_add_f16_e32 v19, v19, v22
	v_mul_f16_e32 v22, 0xb08e, v10
	v_fma_f16 v7, v9, s12, -v7
	v_add_f16_e32 v7, v7, v20
	v_fma_f16 v20, v11, s2, v22
	v_add_f16_e32 v20, v20, v21
	v_mul_f16_e32 v21, 0x3482, v2
	v_fma_f16 v23, v11, s16, v22
	v_fma_f16 v22, v9, s21, v21
	v_fma_f16 v21, v9, s21, -v21
	v_mul_f16_e32 v26, 0xbbad, v10
	v_add_f16_e32 v21, v21, v27
	v_mul_f16_e32 v27, 0x3b47, v2
	v_add_f16_e32 v23, v23, v28
	v_add_f16_e32 v22, v22, v29
	v_fma_f16 v28, v11, s20, v26
	v_fma_f16 v26, v11, s22, v26
	;; [unrolled: 1-line block ×3, first 2 shown]
	v_fma_f16 v27, v9, s4, -v27
	v_add_f16_e32 v26, v26, v30
	v_mul_f16_e32 v30, 0x36a6, v10
	v_add_f16_e32 v27, v27, v31
	v_mul_f16_e32 v31, 0xb853, v2
	v_add_f16_e32 v28, v28, v42
	v_add_f16_e32 v29, v29, v43
	v_fma_f16 v42, v11, s3, v30
	v_fma_f16 v30, v11, s5, v30
	;; [unrolled: 1-line block ×3, first 2 shown]
	v_fma_f16 v31, v9, s14, -v31
	v_mul_f16_e32 v2, 0xba0c, v2
	v_add_f16_e32 v30, v30, v44
	v_mul_f16_e32 v44, 0x3abb, v10
	v_add_f16_e32 v31, v31, v45
	v_fma_f16 v45, v9, s18, v2
	v_mul_f16_e32 v10, 0xb93d, v10
	v_fma_f16 v2, v9, s18, -v2
	v_add_f16_e32 v0, v2, v0
	v_fma_f16 v2, v11, s17, v10
	v_add_f16_e32 v9, v3, v6
	v_sub_f16_e32 v3, v3, v6
	v_add_f16_e32 v1, v2, v1
	v_add_f16_e32 v2, v12, v18
	v_mul_f16_e32 v6, 0xba0c, v3
	v_add_f16_e32 v42, v42, v46
	v_add_f16_e32 v43, v43, v47
	v_fma_f16 v46, v11, s15, v44
	v_fma_f16 v44, v11, s13, v44
	;; [unrolled: 1-line block ×3, first 2 shown]
	v_sub_f16_e32 v10, v12, v18
	v_fma_f16 v11, v2, s18, v6
	v_mul_f16_e32 v12, 0xb93d, v9
	v_fma_f16 v6, v2, s18, -v6
	v_fma_f16 v18, v10, s19, v12
	v_add_f16_e32 v6, v6, v7
	v_fma_f16 v7, v10, s17, v12
	v_mul_f16_e32 v12, 0x3beb, v3
	v_add_f16_e32 v11, v11, v19
	v_fma_f16 v19, v2, s12, v12
	v_fma_f16 v12, v2, s12, -v12
	v_add_f16_e32 v7, v7, v20
	v_mul_f16_e32 v20, 0xb08e, v9
	v_add_f16_e32 v12, v12, v21
	v_mul_f16_e32 v21, 0xb853, v3
	v_add_f16_e32 v18, v18, v23
	v_add_f16_e32 v19, v19, v22
	v_fma_f16 v22, v10, s2, v20
	v_fma_f16 v20, v10, s16, v20
	;; [unrolled: 1-line block ×3, first 2 shown]
	v_fma_f16 v21, v2, s14, -v21
	v_add_f16_e32 v20, v20, v26
	v_mul_f16_e32 v26, 0x3abb, v9
	v_add_f16_e32 v21, v21, v27
	v_mul_f16_e32 v27, 0xb482, v3
	v_add_f16_e32 v22, v22, v28
	v_add_f16_e32 v23, v23, v29
	v_fma_f16 v28, v10, s15, v26
	v_fma_f16 v26, v10, s13, v26
	;; [unrolled: 1-line block ×3, first 2 shown]
	v_fma_f16 v27, v2, s21, -v27
	v_mul_f16_e32 v3, 0x3b47, v3
	v_add_f16_e32 v26, v26, v30
	v_mul_f16_e32 v30, 0xbbad, v9
	v_add_f16_e32 v27, v27, v31
	v_fma_f16 v31, v2, s4, v3
	v_mul_f16_e32 v9, 0x36a6, v9
	v_fma_f16 v2, v2, s4, -v3
	v_add_f16_e32 v0, v2, v0
	v_fma_f16 v2, v10, s5, v9
	v_add_f16_e32 v3, v4, v5
	v_sub_f16_e32 v4, v4, v5
	v_add_f16_e32 v1, v2, v1
	v_add_f16_e32 v2, v13, v14
	v_mul_f16_e32 v5, 0xb482, v4
	v_add_f16_e32 v28, v28, v42
	v_add_f16_e32 v29, v29, v43
	v_fma_f16 v42, v10, s22, v30
	v_fma_f16 v30, v10, s20, v30
	v_fma_f16 v43, v10, s3, v9
	v_fma_f16 v10, v2, s21, v5
	v_sub_f16_e32 v9, v13, v14
	v_add_f16_e32 v10, v10, v11
	v_mul_f16_e32 v11, 0xbbad, v3
	v_fma_f16 v5, v2, s21, -v5
	v_add_f16_e32 v5, v5, v6
	v_fma_f16 v6, v9, s20, v11
	v_add_f16_e32 v6, v6, v7
	v_mul_f16_e32 v7, 0x3853, v4
	v_fma_f16 v13, v9, s22, v11
	v_fma_f16 v11, v2, s14, v7
	v_mul_f16_e32 v14, 0x3abb, v3
	v_fma_f16 v7, v2, s14, -v7
	v_add_f16_e32 v13, v13, v18
	v_fma_f16 v18, v9, s13, v14
	v_add_f16_e32 v7, v7, v12
	v_fma_f16 v12, v9, s15, v14
	v_mul_f16_e32 v14, 0xba0c, v4
	v_add_f16_e32 v11, v11, v19
	v_fma_f16 v19, v2, s18, v14
	v_fma_f16 v14, v2, s18, -v14
	v_add_f16_e32 v12, v12, v20
	v_mul_f16_e32 v20, 0xb93d, v3
	v_add_f16_e32 v14, v14, v21
	v_mul_f16_e32 v21, 0x3b47, v4
	v_add_f16_e32 v18, v18, v22
	v_add_f16_e32 v19, v19, v23
	v_fma_f16 v22, v9, s19, v20
	v_fma_f16 v20, v9, s17, v20
	;; [unrolled: 1-line block ×3, first 2 shown]
	v_fma_f16 v21, v2, s4, -v21
	v_mul_f16_e32 v4, 0xbbeb, v4
	v_add_f16_e32 v50, v50, v52
	v_add_f16_e32 v49, v49, v53
	;; [unrolled: 1-line block ×4, first 2 shown]
	v_mul_f16_e32 v26, 0x36a6, v3
	v_add_f16_e32 v21, v21, v27
	v_fma_f16 v27, v2, s12, v4
	v_mul_f16_e32 v3, 0xb08e, v3
	v_fma_f16 v2, v2, s12, -v4
	v_add_f16_e32 v46, v46, v50
	v_add_f16_e32 v44, v44, v48
	;; [unrolled: 1-line block ×5, first 2 shown]
	v_fma_f16 v2, v9, s2, v3
	v_add_f16_e32 v42, v42, v46
	v_add_f16_e32 v30, v30, v44
	;; [unrolled: 1-line block ×6, first 2 shown]
	v_fma_f16 v28, v9, s3, v26
	v_fma_f16 v26, v9, s5, v26
	;; [unrolled: 1-line block ×3, first 2 shown]
	v_add_f16_e32 v1, v2, v1
	v_pack_b32_f16 v2, v24, v25
	v_pack_b32_f16 v3, v10, v13
	v_add_f16_e32 v28, v28, v42
	v_add_f16_e32 v26, v26, v30
	;; [unrolled: 1-line block ×4, first 2 shown]
	ds_write2_b32 v32, v2, v3 offset1:48
	v_pack_b32_f16 v2, v11, v18
	v_pack_b32_f16 v3, v19, v22
	ds_write2_b32 v32, v2, v3 offset0:96 offset1:144
	v_pack_b32_f16 v2, v23, v28
	v_pack_b32_f16 v3, v27, v29
	;; [unrolled: 1-line block ×4, first 2 shown]
	ds_write2_b32 v32, v2, v3 offset0:192 offset1:240
	ds_write2_b32 v8, v0, v1 offset0:32 offset1:80
	v_pack_b32_f16 v0, v14, v20
	v_pack_b32_f16 v1, v7, v12
	ds_write2_b32 v8, v0, v1 offset0:128 offset1:176
	v_pack_b32_f16 v0, v5, v6
	ds_write_b32 v32, v0 offset:1920
	s_waitcnt lgkmcnt(0)
	; wave barrier
	s_waitcnt lgkmcnt(0)
	ds_read2_b32 v[0:1], v32 offset1:48
	s_mov_b32 s12, 0xf07c1f08
	s_mov_b32 s13, 0x3f5f07c1
	v_mad_u64_u32 v[4:5], s[2:3], s10, v17, 0
	s_waitcnt lgkmcnt(0)
	v_lshrrev_b32_e32 v7, 16, v0
	v_mul_f16_sdwa v2, v41, v7 dst_sel:DWORD dst_unused:UNUSED_PAD src0_sel:WORD_1 src1_sel:DWORD
	v_fma_f16 v2, v41, v0, v2
	v_cvt_f32_f16_e32 v2, v2
	s_movk_i32 s10, 0x1ff
	v_mad_u64_u32 v[5:6], s[2:3], s11, v17, v[5:6]
	v_cvt_f64_f32_e32 v[2:3], v2
	s_movk_i32 s11, 0xffe
	v_mul_f16_sdwa v0, v41, v0 dst_sel:DWORD dst_unused:UNUSED_PAD src0_sel:WORD_1 src1_sel:DWORD
	v_fma_f16 v0, v41, v7, -v0
	v_mul_f64 v[2:3], v[2:3], s[12:13]
	v_cvt_f32_f16_e32 v0, v0
	s_movk_i32 s14, 0x40f
	s_mov_b32 s15, 0x8000
	v_lshlrev_b64 v[4:5], 2, v[4:5]
	v_and_or_b32 v2, v3, s10, v2
	v_cmp_ne_u32_e32 vcc, 0, v2
	v_cndmask_b32_e64 v2, 0, 1, vcc
	v_lshrrev_b32_e32 v6, 8, v3
	v_bfe_u32 v9, v3, 20, 11
	v_and_or_b32 v2, v6, s11, v2
	v_sub_u32_e32 v10, 0x3f1, v9
	v_or_b32_e32 v6, 0x1000, v2
	v_med3_i32 v10, v10, 0, 13
	v_lshrrev_b32_e32 v11, v10, v6
	v_lshlrev_b32_e32 v10, v10, v11
	v_cmp_ne_u32_e32 vcc, v10, v6
	v_cndmask_b32_e64 v6, 0, 1, vcc
	v_or_b32_e32 v6, v11, v6
	v_add_u32_e32 v11, 0xfffffc10, v9
	v_lshl_or_b32 v9, v11, 12, v2
	v_cmp_gt_i32_e32 vcc, 1, v11
	v_cndmask_b32_e32 v6, v9, v6, vcc
	v_and_b32_e32 v9, 7, v6
	v_cmp_lt_i32_e32 vcc, 5, v9
	v_cmp_eq_u32_e64 s[2:3], 3, v9
	v_cvt_f64_f32_e32 v[9:10], v0
	v_lshrrev_b32_e32 v6, 2, v6
	s_or_b64 vcc, s[2:3], vcc
	v_addc_co_u32_e32 v7, vcc, 0, v6, vcc
	v_mul_f64 v[9:10], v[9:10], s[12:13]
	v_mov_b32_e32 v6, 0x7c00
	v_cmp_gt_i32_e32 vcc, 31, v11
	v_cndmask_b32_e32 v0, v6, v7, vcc
	v_cmp_ne_u32_e32 vcc, 0, v2
	v_cndmask_b32_e64 v2, 0, 1, vcc
	v_lshl_or_b32 v2, v2, 9, v6
	v_cmp_eq_u32_e32 vcc, s14, v11
	v_cndmask_b32_e32 v0, v0, v2, vcc
	v_lshrrev_b32_e32 v2, 16, v3
	v_and_or_b32 v7, v2, s15, v0
	v_and_or_b32 v0, v10, s10, v9
	v_cmp_ne_u32_e32 vcc, 0, v0
	v_cndmask_b32_e64 v0, 0, 1, vcc
	v_lshrrev_b32_e32 v2, 8, v10
	v_bfe_u32 v3, v10, 20, 11
	v_and_or_b32 v0, v2, s11, v0
	v_sub_u32_e32 v9, 0x3f1, v3
	v_or_b32_e32 v2, 0x1000, v0
	v_med3_i32 v9, v9, 0, 13
	v_lshrrev_b32_e32 v11, v9, v2
	v_lshlrev_b32_e32 v9, v9, v11
	v_cmp_ne_u32_e32 vcc, v9, v2
	v_cndmask_b32_e64 v2, 0, 1, vcc
	v_add_u32_e32 v3, 0xfffffc10, v3
	v_or_b32_e32 v2, v11, v2
	v_lshl_or_b32 v9, v3, 12, v0
	v_cmp_gt_i32_e32 vcc, 1, v3
	v_cndmask_b32_e32 v2, v9, v2, vcc
	v_and_b32_e32 v9, 7, v2
	v_cmp_lt_i32_e32 vcc, 5, v9
	v_cmp_eq_u32_e64 s[2:3], 3, v9
	v_lshrrev_b32_e32 v2, 2, v2
	s_or_b64 vcc, s[2:3], vcc
	v_addc_co_u32_e32 v2, vcc, 0, v2, vcc
	v_cmp_gt_i32_e32 vcc, 31, v3
	v_cndmask_b32_e32 v2, v6, v2, vcc
	v_cmp_ne_u32_e32 vcc, 0, v0
	v_cndmask_b32_e64 v0, 0, 1, vcc
	v_lshl_or_b32 v0, v0, 9, v6
	v_cmp_eq_u32_e32 vcc, s14, v3
	v_mad_u64_u32 v[11:12], s[2:3], s8, v40, 0
	v_cndmask_b32_e32 v13, v2, v0, vcc
	ds_read2_b32 v[2:3], v32 offset0:132 offset1:180
	v_mov_b32_e32 v0, v12
	v_lshrrev_b32_e32 v14, 16, v10
	v_mad_u64_u32 v[9:10], s[2:3], s9, v40, v[0:1]
	s_waitcnt lgkmcnt(0)
	v_lshrrev_b32_e32 v0, 16, v2
	v_mul_f16_sdwa v10, v39, v0 dst_sel:DWORD dst_unused:UNUSED_PAD src0_sel:WORD_1 src1_sel:DWORD
	v_fma_f16 v10, v39, v2, v10
	v_cvt_f32_f16_e32 v10, v10
	v_mov_b32_e32 v12, v9
	v_and_or_b32 v13, v14, s15, v13
	v_and_b32_e32 v7, 0xffff, v7
	v_cvt_f64_f32_e32 v[9:10], v10
	v_lshl_or_b32 v7, v13, 16, v7
	v_mov_b32_e32 v13, s7
	v_add_co_u32_e32 v14, vcc, s6, v4
	v_mul_f64 v[9:10], v[9:10], s[12:13]
	v_addc_co_u32_e32 v13, vcc, v13, v5, vcc
	v_lshlrev_b64 v[4:5], 2, v[11:12]
	v_mul_f16_sdwa v2, v39, v2 dst_sel:DWORD dst_unused:UNUSED_PAD src0_sel:WORD_1 src1_sel:DWORD
	v_add_co_u32_e32 v11, vcc, v14, v4
	v_addc_co_u32_e32 v12, vcc, v13, v5, vcc
	v_and_or_b32 v4, v10, s10, v9
	v_cmp_ne_u32_e32 vcc, 0, v4
	v_cndmask_b32_e64 v4, 0, 1, vcc
	v_lshrrev_b32_e32 v5, 8, v10
	global_store_dword v[11:12], v7, off
	v_and_or_b32 v7, v5, s11, v4
	v_bfe_u32 v5, v10, 20, 11
	v_sub_u32_e32 v9, 0x3f1, v5
	v_or_b32_e32 v4, 0x1000, v7
	v_med3_i32 v9, v9, 0, 13
	v_lshrrev_b32_e32 v13, v9, v4
	v_lshlrev_b32_e32 v9, v9, v13
	v_cmp_ne_u32_e32 vcc, v9, v4
	v_fma_f16 v0, v39, v0, -v2
	v_cndmask_b32_e64 v4, 0, 1, vcc
	v_add_u32_e32 v9, 0xfffffc10, v5
	v_cvt_f32_f16_e32 v0, v0
	v_or_b32_e32 v4, v13, v4
	v_lshl_or_b32 v5, v9, 12, v7
	v_cmp_gt_i32_e32 vcc, 1, v9
	v_cndmask_b32_e32 v4, v5, v4, vcc
	v_and_b32_e32 v5, 7, v4
	v_cmp_lt_i32_e32 vcc, 5, v5
	v_cmp_eq_u32_e64 s[2:3], 3, v5
	v_lshrrev_b32_e32 v2, 2, v4
	v_cvt_f64_f32_e32 v[4:5], v0
	s_or_b64 vcc, s[2:3], vcc
	v_addc_co_u32_e32 v0, vcc, 0, v2, vcc
	v_mul_f64 v[13:14], v[4:5], s[12:13]
	v_cmp_gt_i32_e32 vcc, 31, v9
	v_cndmask_b32_e32 v0, v6, v0, vcc
	v_cmp_ne_u32_e32 vcc, 0, v7
	v_cndmask_b32_e64 v2, 0, 1, vcc
	v_lshl_or_b32 v2, v2, 9, v6
	v_cmp_eq_u32_e32 vcc, s14, v9
	v_cndmask_b32_e32 v0, v0, v2, vcc
	v_lshrrev_b32_e32 v2, 16, v10
	v_and_or_b32 v0, v2, s15, v0
	v_and_or_b32 v2, v14, s10, v13
	v_cmp_ne_u32_e32 vcc, 0, v2
	v_cndmask_b32_e64 v2, 0, 1, vcc
	v_lshrrev_b32_e32 v4, 8, v14
	v_bfe_u32 v5, v14, 20, 11
	v_and_or_b32 v2, v4, s11, v2
	v_sub_u32_e32 v7, 0x3f1, v5
	v_or_b32_e32 v4, 0x1000, v2
	v_med3_i32 v7, v7, 0, 13
	v_lshrrev_b32_e32 v9, v7, v4
	v_lshlrev_b32_e32 v7, v7, v9
	v_cmp_ne_u32_e32 vcc, v7, v4
	v_cndmask_b32_e64 v4, 0, 1, vcc
	v_add_u32_e32 v7, 0xfffffc10, v5
	v_or_b32_e32 v4, v9, v4
	v_lshl_or_b32 v5, v7, 12, v2
	v_cmp_gt_i32_e32 vcc, 1, v7
	v_cndmask_b32_e32 v4, v5, v4, vcc
	v_and_b32_e32 v5, 7, v4
	v_cmp_lt_i32_e32 vcc, 5, v5
	v_cmp_eq_u32_e64 s[2:3], 3, v5
	v_lshrrev_b32_e32 v4, 2, v4
	s_or_b64 vcc, s[2:3], vcc
	v_addc_co_u32_e32 v4, vcc, 0, v4, vcc
	v_cmp_gt_i32_e32 vcc, 31, v7
	v_cndmask_b32_e32 v9, v6, v4, vcc
	ds_read2_b32 v[4:5], v8 offset0:8 offset1:56
	v_cmp_ne_u32_e32 vcc, 0, v2
	v_cndmask_b32_e64 v2, 0, 1, vcc
	v_lshl_or_b32 v2, v2, 9, v6
	v_cmp_eq_u32_e32 vcc, s14, v7
	v_cndmask_b32_e32 v2, v9, v2, vcc
	v_lshrrev_b32_e32 v7, 16, v14
	v_and_or_b32 v2, v7, s15, v2
	s_waitcnt lgkmcnt(0)
	v_lshrrev_b32_e32 v7, 16, v4
	v_mul_f16_sdwa v9, v38, v7 dst_sel:DWORD dst_unused:UNUSED_PAD src0_sel:WORD_1 src1_sel:DWORD
	v_fma_f16 v9, v38, v4, v9
	v_cvt_f32_f16_e32 v9, v9
	s_mul_i32 s2, s9, 0x84
	s_mul_hi_u32 s3, s8, 0x84
	s_add_i32 s3, s3, s2
	v_cvt_f64_f32_e32 v[9:10], v9
	s_mul_i32 s2, s8, 0x84
	v_and_b32_e32 v0, 0xffff, v0
	s_lshl_b64 s[6:7], s[2:3], 2
	v_mul_f64 v[9:10], v[9:10], s[12:13]
	v_lshl_or_b32 v0, v2, 16, v0
	v_mov_b32_e32 v2, s7
	v_add_co_u32_e32 v11, vcc, s6, v11
	v_addc_co_u32_e32 v12, vcc, v12, v2, vcc
	global_store_dword v[11:12], v0, off
	v_and_or_b32 v0, v10, s10, v9
	v_cmp_ne_u32_e32 vcc, 0, v0
	v_cndmask_b32_e64 v0, 0, 1, vcc
	v_lshrrev_b32_e32 v9, 8, v10
	v_bfe_u32 v13, v10, 20, 11
	v_and_or_b32 v0, v9, s11, v0
	v_sub_u32_e32 v14, 0x3f1, v13
	v_or_b32_e32 v9, 0x1000, v0
	v_med3_i32 v14, v14, 0, 13
	v_lshrrev_b32_e32 v17, v14, v9
	v_lshlrev_b32_e32 v14, v14, v17
	v_cmp_ne_u32_e32 vcc, v14, v9
	v_mul_f16_sdwa v4, v38, v4 dst_sel:DWORD dst_unused:UNUSED_PAD src0_sel:WORD_1 src1_sel:DWORD
	v_cndmask_b32_e64 v9, 0, 1, vcc
	v_fma_f16 v4, v38, v7, -v4
	v_or_b32_e32 v9, v17, v9
	v_add_u32_e32 v17, 0xfffffc10, v13
	v_cvt_f32_f16_e32 v4, v4
	v_lshl_or_b32 v13, v17, 12, v0
	v_cmp_gt_i32_e32 vcc, 1, v17
	v_cndmask_b32_e32 v9, v13, v9, vcc
	v_and_b32_e32 v13, 7, v9
	v_cmp_lt_i32_e32 vcc, 5, v13
	v_cmp_eq_u32_e64 s[2:3], 3, v13
	v_cvt_f64_f32_e32 v[13:14], v4
	v_lshrrev_b32_e32 v7, 2, v9
	s_or_b64 vcc, s[2:3], vcc
	v_addc_co_u32_e32 v4, vcc, 0, v7, vcc
	v_mul_f64 v[13:14], v[13:14], s[12:13]
	v_cmp_gt_i32_e32 vcc, 31, v17
	v_cndmask_b32_e32 v4, v6, v4, vcc
	v_cmp_ne_u32_e32 vcc, 0, v0
	v_cndmask_b32_e64 v0, 0, 1, vcc
	v_lshl_or_b32 v0, v0, 9, v6
	v_cmp_eq_u32_e32 vcc, s14, v17
	v_cndmask_b32_e32 v0, v4, v0, vcc
	v_lshrrev_b32_e32 v4, 16, v10
	v_and_or_b32 v0, v4, s15, v0
	v_and_or_b32 v4, v14, s10, v13
	v_cmp_ne_u32_e32 vcc, 0, v4
	v_cndmask_b32_e64 v4, 0, 1, vcc
	v_lshrrev_b32_e32 v7, 8, v14
	v_bfe_u32 v9, v14, 20, 11
	v_and_or_b32 v4, v7, s11, v4
	v_sub_u32_e32 v10, 0x3f1, v9
	v_or_b32_e32 v7, 0x1000, v4
	v_med3_i32 v10, v10, 0, 13
	v_lshrrev_b32_e32 v13, v10, v7
	v_lshlrev_b32_e32 v10, v10, v13
	v_cmp_ne_u32_e32 vcc, v10, v7
	v_cndmask_b32_e64 v7, 0, 1, vcc
	v_or_b32_e32 v7, v13, v7
	v_add_u32_e32 v13, 0xfffffc10, v9
	v_lshl_or_b32 v9, v13, 12, v4
	v_cmp_gt_i32_e32 vcc, 1, v13
	v_cndmask_b32_e32 v7, v9, v7, vcc
	v_and_b32_e32 v9, 7, v7
	v_cmp_lt_i32_e32 vcc, 5, v9
	v_cmp_eq_u32_e64 s[2:3], 3, v9
	ds_read2_b32 v[9:10], v8 offset0:140 offset1:188
	v_lshrrev_b32_e32 v7, 2, v7
	s_or_b64 vcc, s[2:3], vcc
	v_addc_co_u32_e32 v7, vcc, 0, v7, vcc
	s_waitcnt lgkmcnt(0)
	v_lshrrev_b32_e32 v19, 16, v9
	v_mul_f16_sdwa v17, v37, v19 dst_sel:DWORD dst_unused:UNUSED_PAD src0_sel:WORD_1 src1_sel:DWORD
	v_fma_f16 v17, v37, v9, v17
	v_cvt_f32_f16_e32 v17, v17
	v_cmp_gt_i32_e32 vcc, 31, v13
	v_cndmask_b32_e32 v7, v6, v7, vcc
	v_cmp_ne_u32_e32 vcc, 0, v4
	v_cvt_f64_f32_e32 v[17:18], v17
	v_cndmask_b32_e64 v4, 0, 1, vcc
	v_lshl_or_b32 v4, v4, 9, v6
	v_cmp_eq_u32_e32 vcc, s14, v13
	v_cndmask_b32_e32 v4, v7, v4, vcc
	v_lshrrev_b32_e32 v7, 16, v14
	v_mul_f64 v[13:14], v[17:18], s[12:13]
	v_and_or_b32 v4, v7, s15, v4
	v_and_b32_e32 v0, 0xffff, v0
	v_add_co_u32_e32 v11, vcc, s6, v11
	v_lshl_or_b32 v0, v4, 16, v0
	v_addc_co_u32_e32 v12, vcc, v12, v2, vcc
	global_store_dword v[11:12], v0, off
	v_and_or_b32 v0, v14, s10, v13
	v_cmp_ne_u32_e32 vcc, 0, v0
	v_cndmask_b32_e64 v0, 0, 1, vcc
	v_lshrrev_b32_e32 v4, 8, v14
	v_bfe_u32 v7, v14, 20, 11
	v_and_or_b32 v0, v4, s11, v0
	v_sub_u32_e32 v13, 0x3f1, v7
	v_mul_f16_sdwa v9, v37, v9 dst_sel:DWORD dst_unused:UNUSED_PAD src0_sel:WORD_1 src1_sel:DWORD
	v_or_b32_e32 v4, 0x1000, v0
	v_med3_i32 v13, v13, 0, 13
	v_fma_f16 v9, v37, v19, -v9
	v_lshrrev_b32_e32 v17, v13, v4
	v_cvt_f32_f16_e32 v9, v9
	v_lshlrev_b32_e32 v13, v13, v17
	v_cmp_ne_u32_e32 vcc, v13, v4
	v_cndmask_b32_e64 v4, 0, 1, vcc
	v_or_b32_e32 v4, v17, v4
	v_add_u32_e32 v7, 0xfffffc10, v7
	v_cvt_f64_f32_e32 v[17:18], v9
	v_lshl_or_b32 v13, v7, 12, v0
	v_cmp_gt_i32_e32 vcc, 1, v7
	v_cndmask_b32_e32 v4, v13, v4, vcc
	v_and_b32_e32 v13, 7, v4
	v_cmp_lt_i32_e32 vcc, 5, v13
	v_cmp_eq_u32_e64 s[2:3], 3, v13
	v_mul_f64 v[17:18], v[17:18], s[12:13]
	v_lshrrev_b32_e32 v4, 2, v4
	s_or_b64 vcc, s[2:3], vcc
	v_addc_co_u32_e32 v4, vcc, 0, v4, vcc
	v_cmp_gt_i32_e32 vcc, 31, v7
	v_cndmask_b32_e32 v4, v6, v4, vcc
	v_cmp_ne_u32_e32 vcc, 0, v0
	v_cndmask_b32_e64 v0, 0, 1, vcc
	v_lshl_or_b32 v0, v0, 9, v6
	v_cmp_eq_u32_e32 vcc, s14, v7
	v_cndmask_b32_e32 v0, v4, v0, vcc
	v_lshrrev_b32_e32 v4, 16, v14
	v_and_or_b32 v0, v4, s15, v0
	v_and_or_b32 v4, v18, s10, v17
	v_cmp_ne_u32_e32 vcc, 0, v4
	v_cndmask_b32_e64 v4, 0, 1, vcc
	v_lshrrev_b32_e32 v7, 8, v18
	v_bfe_u32 v9, v18, 20, 11
	v_and_or_b32 v4, v7, s11, v4
	v_sub_u32_e32 v13, 0x3f1, v9
	v_or_b32_e32 v7, 0x1000, v4
	v_med3_i32 v13, v13, 0, 13
	v_lshrrev_b32_e32 v14, v13, v7
	v_lshlrev_b32_e32 v13, v13, v14
	v_cmp_ne_u32_e32 vcc, v13, v7
	v_cndmask_b32_e64 v7, 0, 1, vcc
	v_add_u32_e32 v9, 0xfffffc10, v9
	v_or_b32_e32 v7, v14, v7
	v_lshl_or_b32 v13, v9, 12, v4
	v_cmp_gt_i32_e32 vcc, 1, v9
	v_cndmask_b32_e32 v7, v13, v7, vcc
	v_and_b32_e32 v13, 7, v7
	v_lshrrev_b32_e32 v17, 16, v1
	v_cmp_lt_i32_e32 vcc, 5, v13
	v_cmp_eq_u32_e64 s[2:3], 3, v13
	v_mul_f16_sdwa v13, v36, v17 dst_sel:DWORD dst_unused:UNUSED_PAD src0_sel:WORD_1 src1_sel:DWORD
	v_fma_f16 v13, v36, v1, v13
	v_cvt_f32_f16_e32 v13, v13
	v_lshrrev_b32_e32 v7, 2, v7
	s_or_b64 vcc, s[2:3], vcc
	v_addc_co_u32_e32 v7, vcc, 0, v7, vcc
	v_cvt_f64_f32_e32 v[13:14], v13
	v_cmp_gt_i32_e32 vcc, 31, v9
	v_cndmask_b32_e32 v7, v6, v7, vcc
	v_cmp_ne_u32_e32 vcc, 0, v4
	v_mul_f64 v[13:14], v[13:14], s[12:13]
	v_cndmask_b32_e64 v4, 0, 1, vcc
	v_lshl_or_b32 v4, v4, 9, v6
	v_cmp_eq_u32_e32 vcc, s14, v9
	v_cndmask_b32_e32 v4, v7, v4, vcc
	v_lshrrev_b32_e32 v7, 16, v18
	v_and_or_b32 v4, v7, s15, v4
	v_and_b32_e32 v0, 0xffff, v0
	v_add_co_u32_e32 v11, vcc, s6, v11
	v_lshl_or_b32 v0, v4, 16, v0
	v_addc_co_u32_e32 v12, vcc, v12, v2, vcc
	global_store_dword v[11:12], v0, off
	v_and_or_b32 v0, v14, s10, v13
	v_cmp_ne_u32_e32 vcc, 0, v0
	v_cndmask_b32_e64 v0, 0, 1, vcc
	v_lshrrev_b32_e32 v4, 8, v14
	v_bfe_u32 v7, v14, 20, 11
	v_and_or_b32 v4, v4, s11, v0
	v_sub_u32_e32 v9, 0x3f1, v7
	v_or_b32_e32 v0, 0x1000, v4
	v_med3_i32 v9, v9, 0, 13
	v_lshrrev_b32_e32 v13, v9, v0
	v_lshlrev_b32_e32 v9, v9, v13
	v_mul_f16_sdwa v1, v36, v1 dst_sel:DWORD dst_unused:UNUSED_PAD src0_sel:WORD_1 src1_sel:DWORD
	v_cmp_ne_u32_e32 vcc, v9, v0
	v_fma_f16 v1, v36, v17, -v1
	v_cndmask_b32_e64 v0, 0, 1, vcc
	v_add_u32_e32 v7, 0xfffffc10, v7
	v_cvt_f32_f16_e32 v1, v1
	v_or_b32_e32 v0, v13, v0
	v_lshl_or_b32 v9, v7, 12, v4
	v_cmp_gt_i32_e32 vcc, 1, v7
	v_cndmask_b32_e32 v0, v9, v0, vcc
	v_and_b32_e32 v9, 7, v0
	v_cmp_lt_i32_e32 vcc, 5, v9
	v_cmp_eq_u32_e64 s[2:3], 3, v9
	v_lshrrev_b32_e32 v9, 2, v0
	v_cvt_f64_f32_e32 v[0:1], v1
	s_or_b64 vcc, s[2:3], vcc
	v_addc_co_u32_e32 v9, vcc, 0, v9, vcc
	v_mul_f64 v[0:1], v[0:1], s[12:13]
	v_cmp_gt_i32_e32 vcc, 31, v7
	v_cndmask_b32_e32 v9, v6, v9, vcc
	v_cmp_ne_u32_e32 vcc, 0, v4
	v_cndmask_b32_e64 v4, 0, 1, vcc
	v_lshl_or_b32 v4, v4, 9, v6
	v_cmp_eq_u32_e32 vcc, s14, v7
	v_cndmask_b32_e32 v4, v9, v4, vcc
	v_and_or_b32 v0, v1, s10, v0
	v_lshrrev_b32_e32 v7, 16, v14
	v_cmp_ne_u32_e32 vcc, 0, v0
	v_and_or_b32 v4, v7, s15, v4
	v_cndmask_b32_e64 v0, 0, 1, vcc
	v_lshrrev_b32_e32 v7, 8, v1
	v_bfe_u32 v9, v1, 20, 11
	v_and_or_b32 v0, v7, s11, v0
	v_sub_u32_e32 v13, 0x3f1, v9
	v_or_b32_e32 v7, 0x1000, v0
	v_med3_i32 v13, v13, 0, 13
	v_lshrrev_b32_e32 v14, v13, v7
	v_lshlrev_b32_e32 v13, v13, v14
	v_cmp_ne_u32_e32 vcc, v13, v7
	v_cndmask_b32_e64 v7, 0, 1, vcc
	v_add_u32_e32 v9, 0xfffffc10, v9
	v_or_b32_e32 v7, v14, v7
	v_lshl_or_b32 v13, v9, 12, v0
	v_cmp_gt_i32_e32 vcc, 1, v9
	v_cndmask_b32_e32 v7, v13, v7, vcc
	v_and_b32_e32 v13, 7, v7
	v_cmp_lt_i32_e32 vcc, 5, v13
	v_cmp_eq_u32_e64 s[2:3], 3, v13
	v_lshrrev_b32_e32 v7, 2, v7
	s_or_b64 vcc, s[2:3], vcc
	v_addc_co_u32_e32 v7, vcc, 0, v7, vcc
	v_cmp_gt_i32_e32 vcc, 31, v9
	v_cndmask_b32_e32 v7, v6, v7, vcc
	v_cmp_ne_u32_e32 vcc, 0, v0
	v_cndmask_b32_e64 v0, 0, 1, vcc
	v_lshl_or_b32 v0, v0, 9, v6
	v_cmp_eq_u32_e32 vcc, s14, v9
	v_cndmask_b32_e32 v0, v7, v0, vcc
	v_lshrrev_b32_e32 v1, 16, v1
	v_lshrrev_b32_e32 v9, 16, v3
	v_and_or_b32 v7, v1, s15, v0
	v_mul_f16_sdwa v0, v35, v9 dst_sel:DWORD dst_unused:UNUSED_PAD src0_sel:WORD_1 src1_sel:DWORD
	v_fma_f16 v0, v35, v3, v0
	v_cvt_f32_f16_e32 v0, v0
	s_mul_hi_u32 s3, s8, 0xfffffea4
	s_mul_i32 s2, s9, 0xfffffea4
	s_sub_i32 s3, s3, s8
	v_cvt_f64_f32_e32 v[0:1], v0
	s_add_i32 s3, s3, s2
	s_mul_i32 s2, s8, 0xfffffea4
	v_and_b32_e32 v4, 0xffff, v4
	v_mul_f64 v[0:1], v[0:1], s[12:13]
	s_lshl_b64 s[4:5], s[2:3], 2
	v_lshl_or_b32 v4, v7, 16, v4
	v_mov_b32_e32 v7, s5
	v_add_co_u32_e32 v11, vcc, s4, v11
	v_addc_co_u32_e32 v12, vcc, v12, v7, vcc
	v_and_or_b32 v0, v1, s10, v0
	v_cmp_ne_u32_e32 vcc, 0, v0
	global_store_dword v[11:12], v4, off
	v_cndmask_b32_e64 v0, 0, 1, vcc
	v_lshrrev_b32_e32 v4, 8, v1
	v_bfe_u32 v7, v1, 20, 11
	v_and_or_b32 v0, v4, s11, v0
	v_sub_u32_e32 v13, 0x3f1, v7
	v_or_b32_e32 v4, 0x1000, v0
	v_med3_i32 v13, v13, 0, 13
	v_lshrrev_b32_e32 v14, v13, v4
	v_mul_f16_sdwa v3, v35, v3 dst_sel:DWORD dst_unused:UNUSED_PAD src0_sel:WORD_1 src1_sel:DWORD
	v_lshlrev_b32_e32 v13, v13, v14
	v_fma_f16 v3, v35, v9, -v3
	v_cmp_ne_u32_e32 vcc, v13, v4
	v_cvt_f32_f16_e32 v3, v3
	v_cndmask_b32_e64 v4, 0, 1, vcc
	v_add_u32_e32 v7, 0xfffffc10, v7
	v_or_b32_e32 v4, v14, v4
	v_lshl_or_b32 v13, v7, 12, v0
	v_cmp_gt_i32_e32 vcc, 1, v7
	v_cndmask_b32_e32 v4, v13, v4, vcc
	v_and_b32_e32 v13, 7, v4
	v_lshrrev_b32_e32 v9, 2, v4
	v_cvt_f64_f32_e32 v[3:4], v3
	v_cmp_lt_i32_e32 vcc, 5, v13
	v_cmp_eq_u32_e64 s[2:3], 3, v13
	s_or_b64 vcc, s[2:3], vcc
	v_mul_f64 v[3:4], v[3:4], s[12:13]
	v_addc_co_u32_e32 v9, vcc, 0, v9, vcc
	v_cmp_gt_i32_e32 vcc, 31, v7
	v_cndmask_b32_e32 v9, v6, v9, vcc
	v_cmp_ne_u32_e32 vcc, 0, v0
	v_cndmask_b32_e64 v0, 0, 1, vcc
	v_lshl_or_b32 v0, v0, 9, v6
	v_cmp_eq_u32_e32 vcc, s14, v7
	v_cndmask_b32_e32 v0, v9, v0, vcc
	v_lshrrev_b32_e32 v1, 16, v1
	v_and_or_b32 v7, v1, s15, v0
	v_and_or_b32 v0, v4, s10, v3
	v_cmp_ne_u32_e32 vcc, 0, v0
	v_cndmask_b32_e64 v0, 0, 1, vcc
	v_lshrrev_b32_e32 v1, 8, v4
	v_bfe_u32 v3, v4, 20, 11
	v_and_or_b32 v0, v1, s11, v0
	v_sub_u32_e32 v9, 0x3f1, v3
	v_or_b32_e32 v1, 0x1000, v0
	v_med3_i32 v9, v9, 0, 13
	v_lshrrev_b32_e32 v13, v9, v1
	v_lshlrev_b32_e32 v9, v9, v13
	v_cmp_ne_u32_e32 vcc, v9, v1
	v_cndmask_b32_e64 v1, 0, 1, vcc
	v_add_u32_e32 v3, 0xfffffc10, v3
	v_or_b32_e32 v1, v13, v1
	v_lshl_or_b32 v9, v3, 12, v0
	v_cmp_gt_i32_e32 vcc, 1, v3
	v_cndmask_b32_e32 v1, v9, v1, vcc
	v_and_b32_e32 v9, 7, v1
	v_cmp_lt_i32_e32 vcc, 5, v9
	v_cmp_eq_u32_e64 s[2:3], 3, v9
	v_lshrrev_b32_e32 v1, 2, v1
	s_or_b64 vcc, s[2:3], vcc
	v_addc_co_u32_e32 v1, vcc, 0, v1, vcc
	v_cmp_gt_i32_e32 vcc, 31, v3
	v_lshrrev_b32_e32 v13, 16, v5
	v_cndmask_b32_e32 v9, v6, v1, vcc
	v_mul_f16_sdwa v1, v34, v13 dst_sel:DWORD dst_unused:UNUSED_PAD src0_sel:WORD_1 src1_sel:DWORD
	v_fma_f16 v1, v34, v5, v1
	v_cvt_f32_f16_e32 v1, v1
	v_cmp_ne_u32_e32 vcc, 0, v0
	v_cndmask_b32_e64 v0, 0, 1, vcc
	v_lshl_or_b32 v14, v0, 9, v6
	v_cvt_f64_f32_e32 v[0:1], v1
	v_cmp_eq_u32_e32 vcc, s14, v3
	v_cndmask_b32_e32 v3, v9, v14, vcc
	v_lshrrev_b32_e32 v4, 16, v4
	v_mul_f64 v[0:1], v[0:1], s[12:13]
	v_and_or_b32 v3, v4, s15, v3
	v_and_b32_e32 v4, 0xffff, v7
	v_lshl_or_b32 v7, v3, 16, v4
	v_add_co_u32_e32 v3, vcc, s6, v11
	v_addc_co_u32_e32 v4, vcc, v12, v2, vcc
	v_and_or_b32 v0, v1, s10, v0
	v_cmp_ne_u32_e32 vcc, 0, v0
	global_store_dword v[3:4], v7, off
	v_cndmask_b32_e64 v0, 0, 1, vcc
	v_lshrrev_b32_e32 v7, 8, v1
	v_bfe_u32 v9, v1, 20, 11
	v_and_or_b32 v0, v7, s11, v0
	v_sub_u32_e32 v11, 0x3f1, v9
	v_or_b32_e32 v7, 0x1000, v0
	v_med3_i32 v11, v11, 0, 13
	v_lshrrev_b32_e32 v12, v11, v7
	v_lshlrev_b32_e32 v11, v11, v12
	v_mul_f16_sdwa v5, v34, v5 dst_sel:DWORD dst_unused:UNUSED_PAD src0_sel:WORD_1 src1_sel:DWORD
	v_cmp_ne_u32_e32 vcc, v11, v7
	v_fma_f16 v5, v34, v13, -v5
	v_cndmask_b32_e64 v7, 0, 1, vcc
	v_add_u32_e32 v9, 0xfffffc10, v9
	v_cvt_f32_f16_e32 v5, v5
	v_or_b32_e32 v7, v12, v7
	v_lshl_or_b32 v11, v9, 12, v0
	v_cmp_gt_i32_e32 vcc, 1, v9
	v_cndmask_b32_e32 v7, v11, v7, vcc
	v_and_b32_e32 v11, 7, v7
	v_cmp_lt_i32_e32 vcc, 5, v11
	v_cmp_eq_u32_e64 s[2:3], 3, v11
	v_cvt_f64_f32_e32 v[11:12], v5
	v_lshrrev_b32_e32 v7, 2, v7
	s_or_b64 vcc, s[2:3], vcc
	v_addc_co_u32_e32 v5, vcc, 0, v7, vcc
	v_mul_f64 v[11:12], v[11:12], s[12:13]
	v_cmp_gt_i32_e32 vcc, 31, v9
	v_cndmask_b32_e32 v5, v6, v5, vcc
	v_cmp_ne_u32_e32 vcc, 0, v0
	v_cndmask_b32_e64 v0, 0, 1, vcc
	v_lshl_or_b32 v0, v0, 9, v6
	v_cmp_eq_u32_e32 vcc, s14, v9
	v_cndmask_b32_e32 v0, v5, v0, vcc
	v_lshrrev_b32_e32 v1, 16, v1
	v_and_or_b32 v5, v1, s15, v0
	v_and_or_b32 v0, v12, s10, v11
	v_cmp_ne_u32_e32 vcc, 0, v0
	v_cndmask_b32_e64 v0, 0, 1, vcc
	v_lshrrev_b32_e32 v1, 8, v12
	v_bfe_u32 v7, v12, 20, 11
	v_and_or_b32 v0, v1, s11, v0
	v_sub_u32_e32 v9, 0x3f1, v7
	v_or_b32_e32 v1, 0x1000, v0
	v_med3_i32 v9, v9, 0, 13
	v_lshrrev_b32_e32 v11, v9, v1
	v_lshlrev_b32_e32 v9, v9, v11
	v_cmp_ne_u32_e32 vcc, v9, v1
	v_cndmask_b32_e64 v1, 0, 1, vcc
	v_add_u32_e32 v7, 0xfffffc10, v7
	v_or_b32_e32 v1, v11, v1
	v_lshl_or_b32 v9, v7, 12, v0
	v_cmp_gt_i32_e32 vcc, 1, v7
	v_cndmask_b32_e32 v1, v9, v1, vcc
	v_and_b32_e32 v9, 7, v1
	v_cmp_lt_i32_e32 vcc, 5, v9
	v_cmp_eq_u32_e64 s[2:3], 3, v9
	v_lshrrev_b32_e32 v1, 2, v1
	s_or_b64 vcc, s[2:3], vcc
	v_addc_co_u32_e32 v1, vcc, 0, v1, vcc
	v_cmp_gt_i32_e32 vcc, 31, v7
	v_lshrrev_b32_e32 v11, 16, v10
	v_cndmask_b32_e32 v9, v6, v1, vcc
	v_mul_f16_sdwa v1, v33, v11 dst_sel:DWORD dst_unused:UNUSED_PAD src0_sel:WORD_1 src1_sel:DWORD
	v_fma_f16 v1, v33, v10, v1
	v_cvt_f32_f16_e32 v1, v1
	v_cmp_ne_u32_e32 vcc, 0, v0
	v_cndmask_b32_e64 v0, 0, 1, vcc
	v_lshl_or_b32 v13, v0, 9, v6
	v_cvt_f64_f32_e32 v[0:1], v1
	v_cmp_eq_u32_e32 vcc, s14, v7
	v_cndmask_b32_e32 v7, v9, v13, vcc
	v_lshrrev_b32_e32 v9, 16, v12
	v_mul_f64 v[0:1], v[0:1], s[12:13]
	v_add_co_u32_e32 v3, vcc, s6, v3
	v_and_or_b32 v7, v9, s15, v7
	v_and_b32_e32 v5, 0xffff, v5
	v_addc_co_u32_e32 v4, vcc, v4, v2, vcc
	v_lshl_or_b32 v5, v7, 16, v5
	v_and_or_b32 v0, v1, s10, v0
	v_cmp_ne_u32_e32 vcc, 0, v0
	global_store_dword v[3:4], v5, off
	v_cndmask_b32_e64 v0, 0, 1, vcc
	v_lshrrev_b32_e32 v5, 8, v1
	v_bfe_u32 v7, v1, 20, 11
	v_and_or_b32 v0, v5, s11, v0
	v_sub_u32_e32 v9, 0x3f1, v7
	v_or_b32_e32 v5, 0x1000, v0
	v_med3_i32 v9, v9, 0, 13
	v_lshrrev_b32_e32 v12, v9, v5
	v_lshlrev_b32_e32 v9, v9, v12
	v_mul_f16_sdwa v10, v33, v10 dst_sel:DWORD dst_unused:UNUSED_PAD src0_sel:WORD_1 src1_sel:DWORD
	v_cmp_ne_u32_e32 vcc, v9, v5
	v_fma_f16 v10, v33, v11, -v10
	v_cndmask_b32_e64 v5, 0, 1, vcc
	v_add_u32_e32 v7, 0xfffffc10, v7
	v_cvt_f32_f16_e32 v10, v10
	v_or_b32_e32 v5, v12, v5
	v_lshl_or_b32 v9, v7, 12, v0
	v_cmp_gt_i32_e32 vcc, 1, v7
	v_cndmask_b32_e32 v5, v9, v5, vcc
	v_and_b32_e32 v9, 7, v5
	v_cmp_lt_i32_e32 vcc, 5, v9
	v_cmp_eq_u32_e64 s[2:3], 3, v9
	v_cvt_f64_f32_e32 v[9:10], v10
	v_lshrrev_b32_e32 v5, 2, v5
	s_or_b64 vcc, s[2:3], vcc
	v_addc_co_u32_e32 v5, vcc, 0, v5, vcc
	v_mul_f64 v[9:10], v[9:10], s[12:13]
	v_cmp_gt_i32_e32 vcc, 31, v7
	v_cndmask_b32_e32 v5, v6, v5, vcc
	v_cmp_ne_u32_e32 vcc, 0, v0
	v_cndmask_b32_e64 v0, 0, 1, vcc
	v_lshl_or_b32 v0, v0, 9, v6
	v_cmp_eq_u32_e32 vcc, s14, v7
	v_cndmask_b32_e32 v0, v5, v0, vcc
	v_lshrrev_b32_e32 v1, 16, v1
	v_and_or_b32 v0, v1, s15, v0
	v_and_or_b32 v1, v10, s10, v9
	v_cmp_ne_u32_e32 vcc, 0, v1
	v_cndmask_b32_e64 v1, 0, 1, vcc
	v_lshrrev_b32_e32 v5, 8, v10
	v_bfe_u32 v7, v10, 20, 11
	v_and_or_b32 v1, v5, s11, v1
	v_sub_u32_e32 v9, 0x3f1, v7
	v_or_b32_e32 v5, 0x1000, v1
	v_med3_i32 v9, v9, 0, 13
	v_lshrrev_b32_e32 v11, v9, v5
	v_lshlrev_b32_e32 v9, v9, v11
	v_cmp_ne_u32_e32 vcc, v9, v5
	v_cndmask_b32_e64 v5, 0, 1, vcc
	v_add_u32_e32 v7, 0xfffffc10, v7
	v_or_b32_e32 v5, v11, v5
	v_lshl_or_b32 v9, v7, 12, v1
	v_cmp_gt_i32_e32 vcc, 1, v7
	v_cndmask_b32_e32 v5, v9, v5, vcc
	v_and_b32_e32 v9, 7, v5
	v_cmp_lt_i32_e32 vcc, 5, v9
	v_cmp_eq_u32_e64 s[2:3], 3, v9
	v_lshrrev_b32_e32 v5, 2, v5
	s_or_b64 vcc, s[2:3], vcc
	v_addc_co_u32_e32 v5, vcc, 0, v5, vcc
	v_cmp_gt_i32_e32 vcc, 31, v7
	v_cndmask_b32_e32 v5, v6, v5, vcc
	v_cmp_ne_u32_e32 vcc, 0, v1
	v_cndmask_b32_e64 v1, 0, 1, vcc
	v_lshl_or_b32 v1, v1, 9, v6
	v_cmp_eq_u32_e32 vcc, s14, v7
	v_cndmask_b32_e32 v1, v5, v1, vcc
	v_lshrrev_b32_e32 v5, 16, v10
	v_and_or_b32 v1, v5, s15, v1
	v_and_b32_e32 v0, 0xffff, v0
	v_lshl_or_b32 v5, v1, 16, v0
	v_add_co_u32_e32 v0, vcc, s6, v3
	v_addc_co_u32_e32 v1, vcc, v4, v2, vcc
	global_store_dword v[0:1], v5, off
	s_and_b64 exec, exec, s[0:1]
	s_cbranch_execz .LBB0_31
; %bb.30:
	global_load_dword v4, v[15:16], off offset:384
	global_load_dword v7, v[15:16], off offset:912
	ds_read2_b32 v[2:3], v32 offset0:96 offset1:228
	global_load_dword v13, v[15:16], off offset:1440
	global_load_dword v14, v[15:16], off offset:1968
	v_mov_b32_e32 v16, s5
	v_add_co_u32_e32 v0, vcc, s4, v0
	s_waitcnt lgkmcnt(0)
	v_lshrrev_b32_e32 v5, 16, v2
	v_lshrrev_b32_e32 v15, 16, v3
	v_addc_co_u32_e32 v1, vcc, v1, v16, vcc
	s_waitcnt vmcnt(3)
	v_mul_f16_sdwa v9, v5, v4 dst_sel:DWORD dst_unused:UNUSED_PAD src0_sel:DWORD src1_sel:WORD_1
	v_mul_f16_sdwa v10, v2, v4 dst_sel:DWORD dst_unused:UNUSED_PAD src0_sel:DWORD src1_sel:WORD_1
	v_fma_f16 v2, v2, v4, v9
	v_cvt_f32_f16_e32 v2, v2
	s_waitcnt vmcnt(2)
	v_mul_f16_sdwa v11, v15, v7 dst_sel:DWORD dst_unused:UNUSED_PAD src0_sel:DWORD src1_sel:WORD_1
	v_fma_f16 v4, v4, v5, -v10
	v_cvt_f32_f16_e32 v9, v4
	v_fma_f16 v10, v3, v7, v11
	v_cvt_f64_f32_e32 v[4:5], v2
	v_cvt_f32_f16_e32 v2, v10
	v_cvt_f64_f32_e32 v[9:10], v9
	v_mul_f16_sdwa v3, v3, v7 dst_sel:DWORD dst_unused:UNUSED_PAD src0_sel:DWORD src1_sel:WORD_1
	v_mul_f64 v[4:5], v[4:5], s[12:13]
	v_cvt_f64_f32_e32 v[11:12], v2
	v_mul_f64 v[9:10], v[9:10], s[12:13]
	v_fma_f16 v3, v7, v15, -v3
	v_cvt_f32_f16_e32 v3, v3
	v_mul_f64 v[11:12], v[11:12], s[12:13]
	v_and_or_b32 v2, v5, s10, v4
	v_cmp_ne_u32_e32 vcc, 0, v2
	v_and_or_b32 v9, v10, s10, v9
	v_lshrrev_b32_e32 v4, 8, v5
	v_bfe_u32 v16, v5, 20, 11
	v_and_or_b32 v11, v12, s10, v11
	v_cndmask_b32_e64 v2, 0, 1, vcc
	v_cmp_ne_u32_e32 vcc, 0, v9
	v_lshrrev_b32_e32 v17, 8, v10
	v_bfe_u32 v18, v10, 20, 11
	v_bfe_u32 v20, v12, 20, 11
	v_sub_u32_e32 v21, 0x3f1, v16
	v_cndmask_b32_e64 v9, 0, 1, vcc
	v_cmp_ne_u32_e32 vcc, 0, v11
	v_and_or_b32 v2, v4, s11, v2
	v_lshrrev_b32_e32 v19, 8, v12
	v_sub_u32_e32 v22, 0x3f1, v18
	v_cndmask_b32_e64 v11, 0, 1, vcc
	v_sub_u32_e32 v23, 0x3f1, v20
	v_med3_i32 v4, v21, 0, 13
	v_and_or_b32 v9, v17, s11, v9
	v_or_b32_e32 v21, 0x1000, v2
	v_add_u32_e32 v16, 0xfffffc10, v16
	v_med3_i32 v17, v22, 0, 13
	v_and_or_b32 v11, v19, s11, v11
	v_med3_i32 v19, v23, 0, 13
	v_cmp_ne_u32_e32 vcc, 0, v2
	v_or_b32_e32 v23, 0x1000, v9
	v_lshrrev_b32_e32 v27, v4, v21
	v_add_u32_e32 v18, 0xfffffc10, v18
	v_lshl_or_b32 v22, v16, 12, v2
	v_cndmask_b32_e64 v2, 0, 1, vcc
	v_cmp_ne_u32_e32 vcc, 0, v9
	v_or_b32_e32 v25, 0x1000, v11
	v_lshrrev_b32_e32 v28, v17, v23
	v_lshlrev_b32_e32 v4, v4, v27
	v_lshl_or_b32 v24, v18, 12, v9
	v_cndmask_b32_e64 v9, 0, 1, vcc
	v_lshrrev_b32_e32 v29, v19, v25
	v_lshlrev_b32_e32 v17, v17, v28
	v_cmp_ne_u32_e32 vcc, v4, v21
	v_lshlrev_b32_e32 v19, v19, v29
	v_cndmask_b32_e64 v4, 0, 1, vcc
	v_cmp_ne_u32_e32 vcc, v17, v23
	v_cndmask_b32_e64 v17, 0, 1, vcc
	v_cmp_ne_u32_e32 vcc, v19, v25
	v_cndmask_b32_e64 v19, 0, 1, vcc
	v_or_b32_e32 v4, v27, v4
	v_cmp_gt_i32_e32 vcc, 1, v16
	v_add_u32_e32 v20, 0xfffffc10, v20
	v_or_b32_e32 v17, v28, v17
	v_cndmask_b32_e32 v4, v22, v4, vcc
	v_cmp_gt_i32_e32 vcc, 1, v18
	v_lshl_or_b32 v26, v20, 12, v11
	v_or_b32_e32 v19, v29, v19
	v_cndmask_b32_e32 v17, v24, v17, vcc
	v_cmp_gt_i32_e32 vcc, 1, v20
	v_and_b32_e32 v21, 7, v4
	v_cndmask_b32_e32 v19, v26, v19, vcc
	v_cmp_lt_i32_e32 vcc, 5, v21
	v_cmp_eq_u32_e64 s[0:1], 3, v21
	v_lshrrev_b32_e32 v4, 2, v4
	v_and_b32_e32 v22, 7, v17
	s_or_b64 vcc, s[0:1], vcc
	v_cmp_lt_i32_e64 s[2:3], 5, v22
	v_cmp_eq_u32_e64 s[4:5], 3, v22
	v_addc_co_u32_e32 v4, vcc, 0, v4, vcc
	v_lshrrev_b32_e32 v17, 2, v17
	s_or_b64 vcc, s[4:5], s[2:3]
	v_addc_co_u32_e32 v17, vcc, 0, v17, vcc
	v_cmp_gt_i32_e32 vcc, 31, v16
	v_cndmask_b32_e32 v4, v6, v4, vcc
	v_cmp_gt_i32_e32 vcc, 31, v18
	v_lshl_or_b32 v2, v2, 9, v6
	v_cndmask_b32_e32 v17, v6, v17, vcc
	v_cmp_eq_u32_e32 vcc, s14, v16
	v_lshrrev_b32_e32 v5, 16, v5
	v_lshl_or_b32 v9, v9, 9, v6
	v_cndmask_b32_e32 v2, v4, v2, vcc
	v_cmp_eq_u32_e32 vcc, s14, v18
	v_lshrrev_b32_e32 v10, 16, v10
	v_cndmask_b32_e32 v4, v17, v9, vcc
	v_and_or_b32 v2, v5, s15, v2
	v_and_or_b32 v4, v10, s15, v4
	v_and_b32_e32 v2, 0xffff, v2
	v_lshl_or_b32 v2, v4, 16, v2
	global_store_dword v[0:1], v2, off
	v_and_b32_e32 v2, 7, v19
	v_cmp_lt_i32_e32 vcc, 5, v2
	v_cmp_eq_u32_e64 s[0:1], 3, v2
	v_cvt_f64_f32_e32 v[2:3], v3
	v_lshrrev_b32_e32 v4, 2, v19
	s_or_b64 vcc, s[0:1], vcc
	v_addc_co_u32_e32 v4, vcc, 0, v4, vcc
	v_mul_f64 v[2:3], v[2:3], s[12:13]
	v_cmp_gt_i32_e32 vcc, 31, v20
	v_cndmask_b32_e32 v4, v6, v4, vcc
	v_cmp_ne_u32_e32 vcc, 0, v11
	v_cndmask_b32_e64 v5, 0, 1, vcc
	v_lshl_or_b32 v5, v5, 9, v6
	v_cmp_eq_u32_e32 vcc, s14, v20
	v_cndmask_b32_e32 v4, v4, v5, vcc
	v_and_or_b32 v2, v3, s10, v2
	v_lshrrev_b32_e32 v5, 16, v12
	v_cmp_ne_u32_e32 vcc, 0, v2
	v_and_or_b32 v9, v5, s15, v4
	v_cndmask_b32_e64 v2, 0, 1, vcc
	v_lshrrev_b32_e32 v4, 8, v3
	v_bfe_u32 v5, v3, 20, 11
	v_and_or_b32 v2, v4, s11, v2
	v_sub_u32_e32 v7, 0x3f1, v5
	v_or_b32_e32 v4, 0x1000, v2
	v_med3_i32 v7, v7, 0, 13
	v_lshrrev_b32_e32 v10, v7, v4
	v_lshlrev_b32_e32 v7, v7, v10
	v_cmp_ne_u32_e32 vcc, v7, v4
	v_cndmask_b32_e64 v4, 0, 1, vcc
	v_add_u32_e32 v7, 0xfffffc10, v5
	v_or_b32_e32 v4, v10, v4
	v_lshl_or_b32 v5, v7, 12, v2
	v_cmp_gt_i32_e32 vcc, 1, v7
	v_cndmask_b32_e32 v4, v5, v4, vcc
	v_and_b32_e32 v5, 7, v4
	v_cmp_lt_i32_e32 vcc, 5, v5
	v_cmp_eq_u32_e64 s[0:1], 3, v5
	v_lshrrev_b32_e32 v4, 2, v4
	s_or_b64 vcc, s[0:1], vcc
	v_addc_co_u32_e32 v10, vcc, 0, v4, vcc
	ds_read2_b32 v[4:5], v8 offset0:104 offset1:236
	v_cmp_gt_i32_e32 vcc, 31, v7
	v_cndmask_b32_e32 v8, v6, v10, vcc
	v_cmp_ne_u32_e32 vcc, 0, v2
	v_cndmask_b32_e64 v2, 0, 1, vcc
	s_waitcnt lgkmcnt(0)
	v_lshrrev_b32_e32 v10, 16, v4
	s_waitcnt vmcnt(2)
	v_mul_f16_sdwa v11, v10, v13 dst_sel:DWORD dst_unused:UNUSED_PAD src0_sel:DWORD src1_sel:WORD_1
	v_fma_f16 v11, v4, v13, v11
	v_cvt_f32_f16_e32 v11, v11
	v_lshl_or_b32 v2, v2, 9, v6
	v_cmp_eq_u32_e32 vcc, s14, v7
	v_cndmask_b32_e32 v2, v8, v2, vcc
	v_cvt_f64_f32_e32 v[7:8], v11
	v_lshrrev_b32_e32 v3, 16, v3
	v_and_or_b32 v11, v3, s15, v2
	v_and_b32_e32 v9, 0xffff, v9
	v_mul_f64 v[2:3], v[7:8], s[12:13]
	v_lshl_or_b32 v7, v11, 16, v9
	v_mov_b32_e32 v9, s7
	v_add_co_u32_e32 v0, vcc, s6, v0
	v_addc_co_u32_e32 v1, vcc, v1, v9, vcc
	global_store_dword v[0:1], v7, off
	v_and_or_b32 v2, v3, s10, v2
	v_cmp_ne_u32_e32 vcc, 0, v2
	v_cndmask_b32_e64 v2, 0, 1, vcc
	v_lshrrev_b32_e32 v7, 8, v3
	v_bfe_u32 v8, v3, 20, 11
	v_and_or_b32 v2, v7, s11, v2
	v_sub_u32_e32 v11, 0x3f1, v8
	v_or_b32_e32 v7, 0x1000, v2
	v_med3_i32 v11, v11, 0, 13
	v_lshrrev_b32_e32 v12, v11, v7
	v_lshlrev_b32_e32 v11, v11, v12
	v_mul_f16_sdwa v4, v4, v13 dst_sel:DWORD dst_unused:UNUSED_PAD src0_sel:DWORD src1_sel:WORD_1
	v_cmp_ne_u32_e32 vcc, v11, v7
	v_fma_f16 v4, v13, v10, -v4
	v_cndmask_b32_e64 v7, 0, 1, vcc
	v_add_u32_e32 v11, 0xfffffc10, v8
	v_cvt_f32_f16_e32 v4, v4
	v_or_b32_e32 v7, v12, v7
	v_lshl_or_b32 v8, v11, 12, v2
	v_cmp_gt_i32_e32 vcc, 1, v11
	v_cndmask_b32_e32 v7, v8, v7, vcc
	v_and_b32_e32 v8, 7, v7
	v_cmp_lt_i32_e32 vcc, 5, v8
	v_cmp_eq_u32_e64 s[0:1], 3, v8
	v_lshrrev_b32_e32 v10, 2, v7
	v_cvt_f64_f32_e32 v[7:8], v4
	s_or_b64 vcc, s[0:1], vcc
	v_addc_co_u32_e32 v4, vcc, 0, v10, vcc
	v_mul_f64 v[7:8], v[7:8], s[12:13]
	v_cmp_gt_i32_e32 vcc, 31, v11
	v_cndmask_b32_e32 v4, v6, v4, vcc
	v_cmp_ne_u32_e32 vcc, 0, v2
	v_cndmask_b32_e64 v2, 0, 1, vcc
	v_lshl_or_b32 v2, v2, 9, v6
	v_cmp_eq_u32_e32 vcc, s14, v11
	v_cndmask_b32_e32 v2, v4, v2, vcc
	v_lshrrev_b32_e32 v3, 16, v3
	v_and_or_b32 v4, v3, s15, v2
	v_and_or_b32 v2, v8, s10, v7
	v_cmp_ne_u32_e32 vcc, 0, v2
	v_cndmask_b32_e64 v2, 0, 1, vcc
	v_lshrrev_b32_e32 v3, 8, v8
	v_bfe_u32 v7, v8, 20, 11
	v_and_or_b32 v2, v3, s11, v2
	v_sub_u32_e32 v10, 0x3f1, v7
	v_or_b32_e32 v3, 0x1000, v2
	v_med3_i32 v10, v10, 0, 13
	v_lshrrev_b32_e32 v11, v10, v3
	v_lshlrev_b32_e32 v10, v10, v11
	v_cmp_ne_u32_e32 vcc, v10, v3
	v_cndmask_b32_e64 v3, 0, 1, vcc
	v_add_u32_e32 v7, 0xfffffc10, v7
	v_or_b32_e32 v3, v11, v3
	v_lshl_or_b32 v10, v7, 12, v2
	v_cmp_gt_i32_e32 vcc, 1, v7
	v_cndmask_b32_e32 v3, v10, v3, vcc
	v_and_b32_e32 v10, 7, v3
	v_cmp_lt_i32_e32 vcc, 5, v10
	v_cmp_eq_u32_e64 s[0:1], 3, v10
	v_lshrrev_b32_e32 v3, 2, v3
	s_or_b64 vcc, s[0:1], vcc
	v_addc_co_u32_e32 v3, vcc, 0, v3, vcc
	v_cmp_gt_i32_e32 vcc, 31, v7
	v_lshrrev_b32_e32 v11, 16, v5
	v_cndmask_b32_e32 v10, v6, v3, vcc
	s_waitcnt vmcnt(2)
	v_mul_f16_sdwa v3, v11, v14 dst_sel:DWORD dst_unused:UNUSED_PAD src0_sel:DWORD src1_sel:WORD_1
	v_fma_f16 v3, v5, v14, v3
	v_cvt_f32_f16_e32 v3, v3
	v_cmp_ne_u32_e32 vcc, 0, v2
	v_cndmask_b32_e64 v2, 0, 1, vcc
	v_lshl_or_b32 v12, v2, 9, v6
	v_cvt_f64_f32_e32 v[2:3], v3
	v_cmp_eq_u32_e32 vcc, s14, v7
	v_cndmask_b32_e32 v7, v10, v12, vcc
	v_lshrrev_b32_e32 v8, 16, v8
	v_mul_f64 v[2:3], v[2:3], s[12:13]
	v_add_co_u32_e32 v0, vcc, s6, v0
	v_and_or_b32 v7, v8, s15, v7
	v_and_b32_e32 v4, 0xffff, v4
	v_addc_co_u32_e32 v1, vcc, v1, v9, vcc
	v_lshl_or_b32 v4, v7, 16, v4
	v_and_or_b32 v2, v3, s10, v2
	v_cmp_ne_u32_e32 vcc, 0, v2
	global_store_dword v[0:1], v4, off
	v_cndmask_b32_e64 v2, 0, 1, vcc
	v_lshrrev_b32_e32 v4, 8, v3
	v_bfe_u32 v7, v3, 20, 11
	v_and_or_b32 v2, v4, s11, v2
	v_sub_u32_e32 v8, 0x3f1, v7
	v_or_b32_e32 v4, 0x1000, v2
	v_med3_i32 v8, v8, 0, 13
	v_lshrrev_b32_e32 v10, v8, v4
	v_lshlrev_b32_e32 v8, v8, v10
	v_mul_f16_sdwa v5, v5, v14 dst_sel:DWORD dst_unused:UNUSED_PAD src0_sel:DWORD src1_sel:WORD_1
	v_cmp_ne_u32_e32 vcc, v8, v4
	v_fma_f16 v5, v14, v11, -v5
	v_cndmask_b32_e64 v4, 0, 1, vcc
	v_add_u32_e32 v7, 0xfffffc10, v7
	v_cvt_f32_f16_e32 v5, v5
	v_or_b32_e32 v4, v10, v4
	v_lshl_or_b32 v8, v7, 12, v2
	v_cmp_gt_i32_e32 vcc, 1, v7
	v_cndmask_b32_e32 v4, v8, v4, vcc
	v_and_b32_e32 v8, 7, v4
	v_cmp_lt_i32_e32 vcc, 5, v8
	v_cmp_eq_u32_e64 s[0:1], 3, v8
	v_lshrrev_b32_e32 v8, 2, v4
	v_cvt_f64_f32_e32 v[4:5], v5
	s_or_b64 vcc, s[0:1], vcc
	v_addc_co_u32_e32 v8, vcc, 0, v8, vcc
	v_mul_f64 v[4:5], v[4:5], s[12:13]
	v_cmp_gt_i32_e32 vcc, 31, v7
	v_cndmask_b32_e32 v8, v6, v8, vcc
	v_cmp_ne_u32_e32 vcc, 0, v2
	v_cndmask_b32_e64 v2, 0, 1, vcc
	v_lshl_or_b32 v2, v2, 9, v6
	v_cmp_eq_u32_e32 vcc, s14, v7
	v_cndmask_b32_e32 v2, v8, v2, vcc
	v_lshrrev_b32_e32 v3, 16, v3
	v_and_or_b32 v2, v3, s15, v2
	v_and_or_b32 v3, v5, s10, v4
	v_cmp_ne_u32_e32 vcc, 0, v3
	v_cndmask_b32_e64 v3, 0, 1, vcc
	v_lshrrev_b32_e32 v4, 8, v5
	v_bfe_u32 v7, v5, 20, 11
	v_and_or_b32 v3, v4, s11, v3
	v_sub_u32_e32 v8, 0x3f1, v7
	v_or_b32_e32 v4, 0x1000, v3
	v_med3_i32 v8, v8, 0, 13
	v_lshrrev_b32_e32 v10, v8, v4
	v_lshlrev_b32_e32 v8, v8, v10
	v_cmp_ne_u32_e32 vcc, v8, v4
	v_cndmask_b32_e64 v4, 0, 1, vcc
	v_add_u32_e32 v7, 0xfffffc10, v7
	v_or_b32_e32 v4, v10, v4
	v_lshl_or_b32 v8, v7, 12, v3
	v_cmp_gt_i32_e32 vcc, 1, v7
	v_cndmask_b32_e32 v4, v8, v4, vcc
	v_and_b32_e32 v8, 7, v4
	v_cmp_lt_i32_e32 vcc, 5, v8
	v_cmp_eq_u32_e64 s[0:1], 3, v8
	v_lshrrev_b32_e32 v4, 2, v4
	s_or_b64 vcc, s[0:1], vcc
	v_addc_co_u32_e32 v4, vcc, 0, v4, vcc
	v_cmp_gt_i32_e32 vcc, 31, v7
	v_cndmask_b32_e32 v4, v6, v4, vcc
	v_cmp_ne_u32_e32 vcc, 0, v3
	v_cndmask_b32_e64 v3, 0, 1, vcc
	v_lshl_or_b32 v3, v3, 9, v6
	v_cmp_eq_u32_e32 vcc, s14, v7
	v_cndmask_b32_e32 v3, v4, v3, vcc
	v_lshrrev_b32_e32 v4, 16, v5
	v_and_or_b32 v3, v4, s15, v3
	v_and_b32_e32 v2, 0xffff, v2
	v_add_co_u32_e32 v0, vcc, s6, v0
	v_lshl_or_b32 v2, v3, 16, v2
	v_addc_co_u32_e32 v1, vcc, v1, v9, vcc
	global_store_dword v[0:1], v2, off
.LBB0_31:
	s_endpgm
	.section	.rodata,"a",@progbits
	.p2align	6, 0x0
	.amdhsa_kernel bluestein_single_back_len528_dim1_half_op_CI_CI
		.amdhsa_group_segment_fixed_size 2112
		.amdhsa_private_segment_fixed_size 0
		.amdhsa_kernarg_size 104
		.amdhsa_user_sgpr_count 6
		.amdhsa_user_sgpr_private_segment_buffer 1
		.amdhsa_user_sgpr_dispatch_ptr 0
		.amdhsa_user_sgpr_queue_ptr 0
		.amdhsa_user_sgpr_kernarg_segment_ptr 1
		.amdhsa_user_sgpr_dispatch_id 0
		.amdhsa_user_sgpr_flat_scratch_init 0
		.amdhsa_user_sgpr_private_segment_size 0
		.amdhsa_uses_dynamic_stack 0
		.amdhsa_system_sgpr_private_segment_wavefront_offset 0
		.amdhsa_system_sgpr_workgroup_id_x 1
		.amdhsa_system_sgpr_workgroup_id_y 0
		.amdhsa_system_sgpr_workgroup_id_z 0
		.amdhsa_system_sgpr_workgroup_info 0
		.amdhsa_system_vgpr_workitem_id 0
		.amdhsa_next_free_vgpr 81
		.amdhsa_next_free_sgpr 23
		.amdhsa_reserve_vcc 1
		.amdhsa_reserve_flat_scratch 0
		.amdhsa_float_round_mode_32 0
		.amdhsa_float_round_mode_16_64 0
		.amdhsa_float_denorm_mode_32 3
		.amdhsa_float_denorm_mode_16_64 3
		.amdhsa_dx10_clamp 1
		.amdhsa_ieee_mode 1
		.amdhsa_fp16_overflow 0
		.amdhsa_exception_fp_ieee_invalid_op 0
		.amdhsa_exception_fp_denorm_src 0
		.amdhsa_exception_fp_ieee_div_zero 0
		.amdhsa_exception_fp_ieee_overflow 0
		.amdhsa_exception_fp_ieee_underflow 0
		.amdhsa_exception_fp_ieee_inexact 0
		.amdhsa_exception_int_div_zero 0
	.end_amdhsa_kernel
	.text
.Lfunc_end0:
	.size	bluestein_single_back_len528_dim1_half_op_CI_CI, .Lfunc_end0-bluestein_single_back_len528_dim1_half_op_CI_CI
                                        ; -- End function
	.section	.AMDGPU.csdata,"",@progbits
; Kernel info:
; codeLenInByte = 17968
; NumSgprs: 27
; NumVgprs: 81
; ScratchSize: 0
; MemoryBound: 0
; FloatMode: 240
; IeeeMode: 1
; LDSByteSize: 2112 bytes/workgroup (compile time only)
; SGPRBlocks: 3
; VGPRBlocks: 20
; NumSGPRsForWavesPerEU: 27
; NumVGPRsForWavesPerEU: 81
; Occupancy: 3
; WaveLimiterHint : 1
; COMPUTE_PGM_RSRC2:SCRATCH_EN: 0
; COMPUTE_PGM_RSRC2:USER_SGPR: 6
; COMPUTE_PGM_RSRC2:TRAP_HANDLER: 0
; COMPUTE_PGM_RSRC2:TGID_X_EN: 1
; COMPUTE_PGM_RSRC2:TGID_Y_EN: 0
; COMPUTE_PGM_RSRC2:TGID_Z_EN: 0
; COMPUTE_PGM_RSRC2:TIDIG_COMP_CNT: 0
	.type	__hip_cuid_84b4cf2d3362c46c,@object ; @__hip_cuid_84b4cf2d3362c46c
	.section	.bss,"aw",@nobits
	.globl	__hip_cuid_84b4cf2d3362c46c
__hip_cuid_84b4cf2d3362c46c:
	.byte	0                               ; 0x0
	.size	__hip_cuid_84b4cf2d3362c46c, 1

	.ident	"AMD clang version 19.0.0git (https://github.com/RadeonOpenCompute/llvm-project roc-6.4.0 25133 c7fe45cf4b819c5991fe208aaa96edf142730f1d)"
	.section	".note.GNU-stack","",@progbits
	.addrsig
	.addrsig_sym __hip_cuid_84b4cf2d3362c46c
	.amdgpu_metadata
---
amdhsa.kernels:
  - .args:
      - .actual_access:  read_only
        .address_space:  global
        .offset:         0
        .size:           8
        .value_kind:     global_buffer
      - .actual_access:  read_only
        .address_space:  global
        .offset:         8
        .size:           8
        .value_kind:     global_buffer
      - .actual_access:  read_only
        .address_space:  global
        .offset:         16
        .size:           8
        .value_kind:     global_buffer
      - .actual_access:  read_only
        .address_space:  global
        .offset:         24
        .size:           8
        .value_kind:     global_buffer
      - .actual_access:  read_only
        .address_space:  global
        .offset:         32
        .size:           8
        .value_kind:     global_buffer
      - .offset:         40
        .size:           8
        .value_kind:     by_value
      - .address_space:  global
        .offset:         48
        .size:           8
        .value_kind:     global_buffer
      - .address_space:  global
        .offset:         56
        .size:           8
        .value_kind:     global_buffer
      - .address_space:  global
        .offset:         64
        .size:           8
        .value_kind:     global_buffer
      - .address_space:  global
        .offset:         72
        .size:           8
        .value_kind:     global_buffer
      - .offset:         80
        .size:           4
        .value_kind:     by_value
      - .address_space:  global
        .offset:         88
        .size:           8
        .value_kind:     global_buffer
      - .address_space:  global
        .offset:         96
        .size:           8
        .value_kind:     global_buffer
    .group_segment_fixed_size: 2112
    .kernarg_segment_align: 8
    .kernarg_segment_size: 104
    .language:       OpenCL C
    .language_version:
      - 2
      - 0
    .max_flat_workgroup_size: 48
    .name:           bluestein_single_back_len528_dim1_half_op_CI_CI
    .private_segment_fixed_size: 0
    .sgpr_count:     27
    .sgpr_spill_count: 0
    .symbol:         bluestein_single_back_len528_dim1_half_op_CI_CI.kd
    .uniform_work_group_size: 1
    .uses_dynamic_stack: false
    .vgpr_count:     81
    .vgpr_spill_count: 0
    .wavefront_size: 64
amdhsa.target:   amdgcn-amd-amdhsa--gfx906
amdhsa.version:
  - 1
  - 2
...

	.end_amdgpu_metadata
